;; amdgpu-corpus repo=ROCm/rocFFT kind=compiled arch=gfx1201 opt=O3
	.text
	.amdgcn_target "amdgcn-amd-amdhsa--gfx1201"
	.amdhsa_code_object_version 6
	.protected	bluestein_single_back_len1053_dim1_half_op_CI_CI ; -- Begin function bluestein_single_back_len1053_dim1_half_op_CI_CI
	.globl	bluestein_single_back_len1053_dim1_half_op_CI_CI
	.p2align	8
	.type	bluestein_single_back_len1053_dim1_half_op_CI_CI,@function
bluestein_single_back_len1053_dim1_half_op_CI_CI: ; @bluestein_single_back_len1053_dim1_half_op_CI_CI
; %bb.0:
	s_load_b128 s[16:19], s[0:1], 0x28
	v_mul_u32_u24_e32 v1, 0x231, v0
	s_mov_b32 s2, exec_lo
	v_mov_b32_e32 v13, 0
	s_delay_alu instid0(VALU_DEP_2) | instskip(NEXT) | instid1(VALU_DEP_1)
	v_lshrrev_b32_e32 v1, 16, v1
	v_add_nc_u32_e32 v12, ttmp9, v1
	s_wait_kmcnt 0x0
	s_delay_alu instid0(VALU_DEP_1)
	v_cmpx_gt_u64_e64 s[16:17], v[12:13]
	s_cbranch_execz .LBB0_10
; %bb.1:
	s_clause 0x1
	s_load_b128 s[4:7], s[0:1], 0x18
	s_load_b128 s[8:11], s[0:1], 0x0
	v_mul_lo_u16 v1, 0x75, v1
                                        ; implicit-def: $vgpr112
                                        ; implicit-def: $vgpr109
                                        ; implicit-def: $vgpr111
                                        ; implicit-def: $vgpr104
                                        ; implicit-def: $vgpr113
	s_delay_alu instid0(VALU_DEP_1) | instskip(NEXT) | instid1(VALU_DEP_1)
	v_sub_nc_u16 v0, v0, v1
	v_and_b32_e32 v47, 0xffff, v0
	s_wait_kmcnt 0x0
	s_load_b128 s[12:15], s[4:5], 0x0
	s_wait_kmcnt 0x0
	v_mad_co_u64_u32 v[1:2], null, s14, v12, 0
	v_mad_co_u64_u32 v[3:4], null, s12, v47, 0
	s_mul_u64 s[2:3], s[12:13], 0x57c
	s_mul_i32 s4, s13, 0xfffff6dc
	s_delay_alu instid0(SALU_CYCLE_1) | instskip(NEXT) | instid1(VALU_DEP_1)
	s_sub_co_i32 s4, s4, s12
	v_mad_co_u64_u32 v[5:6], null, s15, v12, v[2:3]
	s_delay_alu instid0(VALU_DEP_1) | instskip(NEXT) | instid1(VALU_DEP_3)
	v_mov_b32_e32 v2, v5
	v_mad_co_u64_u32 v[6:7], null, s13, v47, v[4:5]
	v_add_co_u32 v79, null, 0xea, v47
	s_delay_alu instid0(VALU_DEP_3) | instskip(SKIP_2) | instid1(VALU_DEP_4)
	v_lshlrev_b64_e32 v[1:2], 2, v[1:2]
	v_lshlrev_b32_e32 v35, 2, v47
	v_add_co_u32 v80, null, 0x75, v47
	v_dual_mov_b32 v4, v6 :: v_dual_and_b32 v81, 0xffff, v79
	s_delay_alu instid0(VALU_DEP_4) | instskip(SKIP_1) | instid1(VALU_DEP_3)
	v_add_co_u32 v1, vcc_lo, s18, v1
	v_add_co_ci_u32_e32 v2, vcc_lo, s19, v2, vcc_lo
	v_lshlrev_b64_e32 v[3:4], 2, v[3:4]
	s_clause 0x8
	global_load_b32 v51, v35, s[8:9]
	global_load_b32 v45, v35, s[8:9] offset:468
	global_load_b32 v50, v35, s[8:9] offset:1404
	;; [unrolled: 1-line block ×8, first 2 shown]
	v_mul_u32_u24_e32 v16, 0xaaab, v81
	v_add_co_u32 v1, vcc_lo, v1, v3
	s_wait_alu 0xfffd
	v_add_co_ci_u32_e32 v2, vcc_lo, v2, v4, vcc_lo
	s_delay_alu instid0(VALU_DEP_3) | instskip(NEXT) | instid1(VALU_DEP_3)
	v_lshrrev_b32_e32 v19, 17, v16
	v_add_co_u32 v3, vcc_lo, v1, s2
	s_wait_alu 0xfffd
	s_delay_alu instid0(VALU_DEP_3)
	v_add_co_ci_u32_e32 v4, vcc_lo, s3, v2, vcc_lo
	global_load_b32 v9, v[1:2], off
	v_add_co_u32 v5, vcc_lo, v3, s2
	s_wait_alu 0xfffd
	v_add_co_ci_u32_e32 v6, vcc_lo, s3, v4, vcc_lo
	s_clause 0x1
	global_load_b32 v10, v[3:4], off
	global_load_b32 v11, v[5:6], off
	v_mad_co_u64_u32 v[7:8], null, 0xfffff6dc, s12, v[5:6]
	v_add_nc_u32_e32 v22, 0x200, v35
	v_add_nc_u32_e32 v25, 0xa00, v35
	v_and_b32_e32 v15, 0xff, v80
	v_mul_u32_u24_e32 v16, 3, v80
	v_add_nc_u32_e32 v8, s4, v8
	v_add_co_u32 v1, vcc_lo, v7, s2
	s_delay_alu instid0(VALU_DEP_4) | instskip(NEXT) | instid1(VALU_DEP_4)
	v_mul_lo_u16 v15, 0xab, v15
	v_lshlrev_b32_e32 v62, 2, v16
	s_wait_alu 0xfffd
	v_add_co_ci_u32_e32 v2, vcc_lo, s3, v8, vcc_lo
	v_add_co_u32 v3, vcc_lo, v1, s2
	global_load_b32 v7, v[7:8], off
	s_wait_alu 0xfffd
	v_add_co_ci_u32_e32 v4, vcc_lo, s3, v2, vcc_lo
	global_load_b32 v8, v[1:2], off
	v_lshrrev_b16 v21, 9, v15
	v_mad_co_u64_u32 v[5:6], null, 0xfffff6dc, s12, v[3:4]
	global_load_b32 v13, v[3:4], off
	v_mul_lo_u16 v15, v21, 3
	v_add_nc_u32_e32 v6, s4, v6
	v_add_co_u32 v1, vcc_lo, v5, s2
	s_wait_alu 0xfffd
	s_delay_alu instid0(VALU_DEP_2) | instskip(NEXT) | instid1(VALU_DEP_2)
	v_add_co_ci_u32_e32 v2, vcc_lo, s3, v6, vcc_lo
	v_add_co_u32 v3, vcc_lo, v1, s2
	global_load_b32 v5, v[5:6], off
	s_wait_alu 0xfffd
	v_add_co_ci_u32_e32 v4, vcc_lo, s3, v2, vcc_lo
	global_load_b32 v6, v[1:2], off
	global_load_b32 v3, v[3:4], off
	v_mul_lo_u16 v1, v0, 3
	v_and_b32_e32 v2, 0xff, v0
	s_load_b128 s[4:7], s[6:7], 0x0
	v_cmp_gt_u16_e32 vcc_lo, 0x51, v0
	s_load_b64 s[2:3], s[0:1], 0x38
	v_and_b32_e32 v4, 0xffff, v1
	v_mul_lo_u16 v14, 0xab, v2
	v_add_nc_u32_e32 v2, 0x600, v35
	v_add_nc_u32_e32 v1, 0xc00, v35
	s_delay_alu instid0(VALU_DEP_4) | instskip(SKIP_2) | instid1(VALU_DEP_2)
	v_lshlrev_b32_e32 v33, 2, v4
	v_mul_lo_u16 v4, v19, 3
	v_lshrrev_b16 v20, 9, v14
	v_sub_nc_u16 v23, v79, v4
	s_delay_alu instid0(VALU_DEP_2)
	v_mul_lo_u16 v14, v20, 3
	s_wait_loadcnt 0xf
	v_lshrrev_b32_e32 v53, 16, v50
	v_lshrrev_b32_e32 v54, 16, v51
	s_wait_loadcnt 0xc
	v_lshrrev_b32_e32 v52, 16, v48
	v_lshrrev_b32_e32 v49, 16, v45
	;; [unrolled: 1-line block ×4, first 2 shown]
	s_wait_loadcnt 0xa
	v_lshrrev_b32_e32 v42, 16, v39
	v_lshrrev_b32_e32 v40, 16, v37
	s_wait_loadcnt 0x9
	v_lshrrev_b32_e32 v38, 16, v36
	s_wait_loadcnt 0x8
	v_lshrrev_b32_e32 v4, 16, v9
	v_mul_f16_e32 v17, v54, v9
	s_delay_alu instid0(VALU_DEP_2) | instskip(SKIP_2) | instid1(VALU_DEP_3)
	v_mul_f16_e32 v24, v54, v4
	s_wait_loadcnt 0x7
	v_lshrrev_b32_e32 v18, 16, v10
	v_fma_f16 v4, v51, v4, -v17
	s_wait_loadcnt 0x6
	v_lshrrev_b32_e32 v17, 16, v11
	v_mul_f16_e32 v26, v53, v10
	v_mul_f16_e32 v28, v52, v11
	;; [unrolled: 1-line block ×3, first 2 shown]
	v_fmac_f16_e32 v24, v51, v9
	v_mul_f16_e32 v9, v52, v17
	v_fma_f16 v18, v50, v18, -v26
	s_delay_alu instid0(VALU_DEP_4) | instskip(SKIP_1) | instid1(VALU_DEP_4)
	v_fmac_f16_e32 v27, v50, v10
	v_fma_f16 v10, v48, v17, -v28
	v_fmac_f16_e32 v9, v48, v11
	v_pack_b32_f16 v4, v24, v4
	s_delay_alu instid0(VALU_DEP_4) | instskip(NEXT) | instid1(VALU_DEP_3)
	v_pack_b32_f16 v11, v27, v18
	v_pack_b32_f16 v9, v9, v10
	s_wait_loadcnt 0x5
	v_lshrrev_b32_e32 v17, 16, v7
	v_mul_f16_e32 v18, v49, v7
	s_wait_loadcnt 0x4
	v_lshrrev_b32_e32 v10, 16, v8
	v_mul_f16_e32 v26, v46, v8
	v_mul_f16_e32 v24, v49, v17
	v_fma_f16 v17, v45, v17, -v18
	s_delay_alu instid0(VALU_DEP_4) | instskip(NEXT) | instid1(VALU_DEP_4)
	v_mul_f16_e32 v18, v46, v10
	v_fma_f16 v10, v43, v10, -v26
	s_delay_alu instid0(VALU_DEP_4)
	v_fmac_f16_e32 v24, v45, v7
	s_wait_loadcnt 0x3
	v_lshrrev_b32_e32 v7, 16, v13
	v_mul_f16_e32 v26, v44, v13
	v_fmac_f16_e32 v18, v43, v8
	v_pack_b32_f16 v17, v24, v17
	s_delay_alu instid0(VALU_DEP_4) | instskip(NEXT) | instid1(VALU_DEP_4)
	v_mul_f16_e32 v24, v44, v7
	v_fma_f16 v7, v41, v7, -v26
	s_delay_alu instid0(VALU_DEP_2) | instskip(SKIP_3) | instid1(VALU_DEP_3)
	v_fmac_f16_e32 v24, v41, v13
	s_wait_loadcnt 0x2
	v_lshrrev_b32_e32 v8, 16, v5
	v_mul_f16_e32 v26, v42, v5
	v_pack_b32_f16 v7, v24, v7
	s_wait_loadcnt 0x1
	v_lshrrev_b32_e32 v13, 16, v6
	s_wait_loadcnt 0x0
	v_lshrrev_b32_e32 v28, 16, v3
	v_mul_f16_e32 v27, v42, v8
	v_fma_f16 v8, v39, v8, -v26
	v_mul_f16_e32 v26, v40, v6
	v_mul_f16_e32 v29, v40, v13
	;; [unrolled: 1-line block ×4, first 2 shown]
	v_fmac_f16_e32 v27, v39, v5
	v_fma_f16 v5, v37, v13, -v26
	v_fmac_f16_e32 v29, v37, v6
	v_fma_f16 v6, v36, v28, -v30
	v_fmac_f16_e32 v31, v36, v3
	v_pack_b32_f16 v8, v27, v8
	v_pack_b32_f16 v3, v18, v10
	;; [unrolled: 1-line block ×3, first 2 shown]
	v_sub_nc_u16 v13, v80, v15
	v_pack_b32_f16 v6, v31, v6
	ds_store_b32 v35, v11 offset:1404
	ds_store_b32 v35, v9 offset:2808
	ds_store_2addr_b32 v35, v4, v17 offset1:117
	ds_store_b32 v35, v8 offset:936
	ds_store_2addr_b32 v2, v3, v5 offset0:84 offset1:201
	ds_store_2addr_b32 v1, v7, v6 offset0:51 offset1:168
	global_wb scope:SCOPE_SE
	s_wait_dscnt 0x0
	s_wait_kmcnt 0x0
	s_barrier_signal -1
	s_barrier_wait -1
	global_inv scope:SCOPE_SE
	ds_load_2addr_b32 v[3:4], v35 offset1:117
	ds_load_2addr_b32 v[5:6], v2 offset0:84 offset1:201
	ds_load_2addr_b32 v[7:8], v25 offset0:62 offset1:179
	;; [unrolled: 1-line block ×3, first 2 shown]
	ds_load_b32 v17, v35 offset:3744
	v_sub_nc_u16 v11, v0, v14
	v_lshlrev_b16 v14, 1, v23
	v_mul_u32_u24_e32 v15, 3, v79
	v_and_b32_e32 v26, 0xff, v13
	global_wb scope:SCOPE_SE
	s_wait_dscnt 0x0
	v_and_b32_e32 v11, 0xff, v11
	v_and_b32_e32 v13, 0xffff, v14
	v_lshlrev_b32_e32 v34, 2, v15
	v_lshlrev_b32_e32 v15, 3, v26
	s_barrier_signal -1
	v_lshlrev_b32_e32 v14, 3, v11
	v_lshlrev_b32_e32 v13, 2, v13
	s_barrier_wait -1
	global_inv scope:SCOPE_SE
	v_pk_add_f16 v16, v4, v5
	v_pk_add_f16 v18, v5, v8
	v_pk_add_f16 v5, v5, v8 neg_lo:[0,1] neg_hi:[0,1]
	v_pk_add_f16 v27, v3, v10
	v_pk_add_f16 v28, v10, v7
	v_pk_add_f16 v10, v10, v7 neg_lo:[0,1] neg_hi:[0,1]
	;; [unrolled: 3-line block ×3, first 2 shown]
	v_pk_fma_f16 v4, v18, 0.5, v4 op_sel_hi:[1,0,1] neg_lo:[1,0,0] neg_hi:[1,0,0]
	v_pk_mul_f16 v5, 0x3aee, v5 op_sel_hi:[0,1]
	v_pk_fma_f16 v3, v28, 0.5, v3 op_sel_hi:[1,0,1] neg_lo:[1,0,0] neg_hi:[1,0,0]
	v_pk_mul_f16 v10, 0x3aee, v10 op_sel_hi:[0,1]
	;; [unrolled: 2-line block ×3, first 2 shown]
	v_pk_add_f16 v8, v16, v8
	v_pk_add_f16 v16, v24, v17
	v_pk_add_f16 v17, v4, v5 op_sel:[0,1] op_sel_hi:[1,0]
	v_pk_add_f16 v4, v4, v5 op_sel:[0,1] op_sel_hi:[1,0] neg_lo:[0,1] neg_hi:[0,1]
	v_pk_add_f16 v5, v3, v10 op_sel:[0,1] op_sel_hi:[1,0]
	v_pk_add_f16 v3, v3, v10 op_sel:[0,1] op_sel_hi:[1,0] neg_lo:[0,1] neg_hi:[0,1]
	;; [unrolled: 2-line block ×3, first 2 shown]
	v_pk_add_f16 v7, v27, v7
	v_bfi_b32 v9, 0xffff, v17, v4
	v_bfi_b32 v18, 0xffff, v5, v3
	;; [unrolled: 1-line block ×6, first 2 shown]
	ds_store_2addr_b32 v33, v7, v18 offset1:1
	ds_store_b32 v33, v3 offset:8
	ds_store_2addr_b32 v62, v8, v9 offset1:1
	ds_store_b32 v62, v4 offset:8
	;; [unrolled: 2-line block ×3, first 2 shown]
	global_wb scope:SCOPE_SE
	s_wait_dscnt 0x0
	s_barrier_signal -1
	s_barrier_wait -1
	global_inv scope:SCOPE_SE
	s_clause 0x2
	global_load_b64 v[17:18], v14, s[10:11]
	global_load_b64 v[15:16], v15, s[10:11]
	;; [unrolled: 1-line block ×3, first 2 shown]
	v_and_b32_e32 v7, 0xffff, v20
	v_and_b32_e32 v8, 0xffff, v21
	v_mad_u16 v9, v19, 9, v23
	ds_load_2addr_b32 v[23:24], v35 offset1:117
	ds_load_2addr_b32 v[21:22], v22 offset0:106 offset1:223
	ds_load_2addr_b32 v[3:4], v25 offset0:62 offset1:179
	;; [unrolled: 1-line block ×3, first 2 shown]
	v_mul_u32_u24_e32 v0, 9, v7
	v_mul_u32_u24_e32 v7, 9, v8
	v_and_b32_e32 v8, 0xffff, v9
	ds_load_b32 v9, v35 offset:3744
	v_add_co_u32 v29, s0, s8, v35
	v_add_lshl_u32 v59, v0, v11, 2
	v_add_lshl_u32 v58, v7, v26, 2
	v_lshlrev_b32_e32 v57, 2, v8
	s_wait_alu 0xf1ff
	v_add_co_ci_u32_e64 v30, null, s9, 0, s0
	global_wb scope:SCOPE_SE
	s_wait_loadcnt_dscnt 0x0
	s_barrier_signal -1
	s_barrier_wait -1
	global_inv scope:SCOPE_SE
	v_lshrrev_b32_e32 v92, 16, v24
	v_lshrrev_b32_e32 v0, 16, v22
	;; [unrolled: 1-line block ×15, first 2 shown]
	v_mul_f16_e32 v20, v0, v72
	v_mul_f16_e32 v25, v22, v72
	;; [unrolled: 1-line block ×12, first 2 shown]
	v_fma_f16 v20, v22, v17, -v20
	v_fmac_f16_e32 v25, v0, v17
	v_fma_f16 v0, v3, v18, -v26
	v_fmac_f16_e32 v27, v7, v18
	;; [unrolled: 2-line block ×6, first 2 shown]
	v_add_f16_e32 v8, v20, v0
	v_add_f16_e32 v11, v25, v27
	v_add_f16_e32 v28, v3, v4
	v_sub_f16_e32 v32, v31, v55
	v_add_f16_e32 v56, v92, v31
	v_add_f16_e32 v31, v31, v55
	v_add_f16_e32 v64, v5, v6
	v_sub_f16_e32 v65, v60, v63
	;; [unrolled: 4-line block ×3, first 2 shown]
	v_add_f16_e32 v10, v90, v25
	v_sub_f16_e32 v22, v20, v0
	v_add_f16_e32 v20, v24, v3
	v_fma_f16 v25, -0.5, v8, v23
	v_fmac_f16_e32 v90, -0.5, v11
	v_sub_f16_e32 v3, v3, v4
	v_fmac_f16_e32 v24, -0.5, v28
	v_fmac_f16_e32 v92, -0.5, v31
	v_add_f16_e32 v61, v21, v5
	v_sub_f16_e32 v5, v5, v6
	v_fmac_f16_e32 v21, -0.5, v64
	v_fmac_f16_e32 v91, -0.5, v60
	v_add_f16_e32 v19, v7, v0
	v_add_f16_e32 v82, v10, v27
	;; [unrolled: 1-line block ×3, first 2 shown]
	v_fmamk_f16 v20, v9, 0x3aee, v25
	v_fmamk_f16 v101, v22, 0xbaee, v90
	v_fmac_f16_e32 v25, 0xbaee, v9
	v_fmac_f16_e32 v90, 0x3aee, v22
	v_add_f16_e32 v94, v56, v55
	v_fmamk_f16 v23, v32, 0x3aee, v24
	v_fmamk_f16 v102, v3, 0xbaee, v92
	v_fmac_f16_e32 v24, 0xbaee, v32
	v_fmac_f16_e32 v92, 0x3aee, v3
	v_add_f16_e32 v27, v61, v6
	v_add_f16_e32 v93, v66, v63
	v_fmamk_f16 v28, v65, 0x3aee, v21
	v_fmamk_f16 v95, v5, 0xbaee, v91
	v_fmac_f16_e32 v21, 0xbaee, v65
	v_fmac_f16_e32 v91, 0x3aee, v5
	v_pack_b32_f16 v0, v19, v82
	v_pack_b32_f16 v5, v20, v101
	v_pack_b32_f16 v6, v25, v90
	v_pack_b32_f16 v3, v26, v94
	v_pack_b32_f16 v7, v23, v102
	v_pack_b32_f16 v8, v24, v92
	v_pack_b32_f16 v4, v27, v93
	v_pack_b32_f16 v9, v28, v95
	v_pack_b32_f16 v10, v21, v91
	ds_store_2addr_b32 v59, v0, v5 offset1:3
	ds_store_b32 v59, v6 offset:24
	ds_store_2addr_b32 v58, v3, v7 offset1:3
	ds_store_b32 v58, v8 offset:24
	;; [unrolled: 2-line block ×3, first 2 shown]
	global_wb scope:SCOPE_SE
	s_wait_dscnt 0x0
	s_barrier_signal -1
	s_barrier_wait -1
	global_inv scope:SCOPE_SE
                                        ; implicit-def: $vgpr31
	s_and_saveexec_b32 s0, vcc_lo
	s_cbranch_execz .LBB0_3
; %bb.2:
	v_add_nc_u32_e32 v0, 0x400, v35
	ds_load_2addr_b32 v[19:20], v35 offset1:81
	ds_load_2addr_b32 v[25:26], v35 offset0:162 offset1:243
	ds_load_2addr_b32 v[27:28], v2 offset0:102 offset1:183
	v_add_nc_u32_e32 v2, 0x800, v35
	ds_load_2addr_b32 v[31:32], v1 offset0:42 offset1:123
	ds_load_2addr_b32 v[23:24], v0 offset0:68 offset1:149
	;; [unrolled: 1-line block ×3, first 2 shown]
	ds_load_b32 v104, v35 offset:3888
	s_wait_dscnt 0x6
	v_lshrrev_b32_e32 v82, 16, v19
	v_lshrrev_b32_e32 v101, 16, v20
	s_wait_dscnt 0x5
	v_lshrrev_b32_e32 v90, 16, v25
	v_lshrrev_b32_e32 v94, 16, v26
	;; [unrolled: 3-line block ×6, first 2 shown]
	s_wait_dscnt 0x0
	v_lshrrev_b32_e32 v113, 16, v104
.LBB0_3:
	s_wait_alu 0xfffe
	s_or_b32 exec_lo, exec_lo, s0
	v_and_b32_e32 v0, 0xff, v47
	s_delay_alu instid0(VALU_DEP_1) | instskip(NEXT) | instid1(VALU_DEP_1)
	v_mul_lo_u16 v0, v0, 57
	v_lshrrev_b16 v56, 9, v0
	s_delay_alu instid0(VALU_DEP_1) | instskip(SKIP_1) | instid1(VALU_DEP_2)
	v_mul_lo_u16 v0, v56, 9
	v_and_b32_e32 v56, 0xffff, v56
	v_sub_nc_u16 v0, v47, v0
	s_delay_alu instid0(VALU_DEP_1) | instskip(NEXT) | instid1(VALU_DEP_1)
	v_and_b32_e32 v55, 0xff, v0
	v_mad_co_u64_u32 v[8:9], null, v55, 48, s[10:11]
	s_clause 0x2
	global_load_b128 v[4:7], v[8:9], off offset:24
	global_load_b128 v[0:3], v[8:9], off offset:40
	global_load_b128 v[8:11], v[8:9], off offset:56
	global_wb scope:SCOPE_SE
	s_wait_loadcnt 0x0
	s_barrier_signal -1
	s_barrier_wait -1
	global_inv scope:SCOPE_SE
	v_lshrrev_b32_e32 v76, 16, v4
	v_lshrrev_b32_e32 v75, 16, v5
	;; [unrolled: 1-line block ×8, first 2 shown]
	v_mul_f16_e32 v103, v101, v76
	v_mul_f16_e32 v100, v20, v76
	;; [unrolled: 1-line block ×6, first 2 shown]
	v_lshrrev_b32_e32 v65, 16, v7
	v_lshrrev_b32_e32 v60, 16, v2
	;; [unrolled: 1-line block ×3, first 2 shown]
	v_mul_f16_e32 v99, v25, v75
	v_mul_f16_e32 v106, v94, v73
	;; [unrolled: 1-line block ×7, first 2 shown]
	v_fma_f16 v110, v20, v4, -v103
	v_fmac_f16_e32 v100, v101, v4
	v_fma_f16 v108, v25, v5, -v105
	v_fma_f16 v105, v24, v0, -v115
	;; [unrolled: 1-line block ×3, first 2 shown]
	v_fmac_f16_e32 v83, v113, v11
	v_lshrrev_b32_e32 v66, 16, v8
	v_mul_f16_e32 v98, v26, v73
	v_mul_f16_e32 v97, v23, v65
	;; [unrolled: 1-line block ×5, first 2 shown]
	v_fmac_f16_e32 v99, v90, v5
	v_fma_f16 v107, v26, v6, -v106
	v_fma_f16 v103, v27, v1, -v116
	;; [unrolled: 1-line block ×4, first 2 shown]
	v_fmac_f16_e32 v85, v111, v10
	v_sub_f16_e32 v118, v110, v24
	v_sub_f16_e32 v116, v100, v83
	v_mul_f16_e32 v114, v102, v65
	v_mul_f16_e32 v87, v21, v64
	;; [unrolled: 1-line block ×4, first 2 shown]
	v_fmac_f16_e32 v98, v94, v6
	v_fmac_f16_e32 v97, v102, v7
	v_fma_f16 v102, v28, v2, -v117
	v_fma_f16 v25, v31, v9, -v120
	v_fmac_f16_e32 v84, v109, v9
	v_add_f16_e32 v20, v110, v24
	v_add_f16_e32 v21, v100, v83
	v_sub_f16_e32 v120, v108, v26
	v_sub_f16_e32 v117, v99, v85
	v_mul_f16_e32 v123, 0xb770, v116
	v_mul_f16_e64 v136, 0xb770, v118
	v_mul_f16_e64 v142, 0xba95, v116
	;; [unrolled: 1-line block ×7, first 2 shown]
	v_mul_f16_e32 v88, v28, v60
	v_fma_f16 v106, v23, v7, -v114
	v_fma_f16 v28, v22, v8, -v119
	v_fmac_f16_e32 v86, v112, v8
	v_add_f16_e32 v22, v108, v26
	v_add_f16_e32 v23, v99, v85
	v_sub_f16_e32 v119, v98, v84
	v_sub_f16_e64 v160, v107, v25
	v_mul_f16_e64 v140, 0xbb7b, v117
	v_mul_f16_e64 v152, 0xb3a8, v117
	;; [unrolled: 1-line block ×8, first 2 shown]
	v_fma_f16 v31, 0x388b, v20, v142
	v_fma_f16 v32, 0x2fb7, v20, v153
	;; [unrolled: 1-line block ×3, first 2 shown]
	v_fma_f16 v181, v21, 0x3b15, -v136
	v_fma_f16 v184, v21, 0x388b, -v151
	;; [unrolled: 1-line block ×3, first 2 shown]
	v_fma_f16 v188, 0xb5ac, v20, v168
	v_fma_f16 v190, v21, 0xb5ac, -v175
	v_mul_f16_e32 v89, v27, v61
	v_fmac_f16_e32 v96, v92, v0
	v_fmac_f16_e32 v87, v91, v3
	v_add_f16_e32 v27, v107, v25
	v_sub_f16_e32 v121, v97, v86
	v_add_f16_e32 v112, v98, v84
	v_sub_f16_e64 v161, v106, v28
	v_mul_f16_e64 v139, 0xb3a8, v119
	v_mul_f16_e64 v145, 0x3b7b, v119
	v_mul_f16_e64 v129, 0xbbf1, v119
	v_mul_f16_e64 v135, 0xbbf1, v160
	v_mul_f16_e64 v150, 0xb3a8, v160
	v_mul_f16_e64 v157, 0x3b7b, v160
	v_mul_f16_e64 v166, 0x3770, v119
	v_mul_f16_e64 v169, 0x3770, v160
	v_fma_f16 v90, 0xb5ac, v22, v140
	v_fma_f16 v91, 0xbbc4, v22, v152
	;; [unrolled: 1-line block ×3, first 2 shown]
	v_fma_f16 v183, v23, 0x388b, -v138
	v_fma_f16 v185, v23, 0xb5ac, -v149
	;; [unrolled: 1-line block ×3, first 2 shown]
	v_fma_f16 v189, 0xb9fd, v22, v164
	v_fma_f16 v191, v23, 0xb9fd, -v174
	v_add_f16_e32 v31, v19, v31
	v_add_f16_e32 v32, v19, v32
	v_add_f16_e64 v180, v19, v180
	v_add_f16_e64 v181, v82, v181
	;; [unrolled: 1-line block ×6, first 2 shown]
	v_fmac_f16_e32 v89, v93, v1
	v_fmac_f16_e32 v88, v95, v2
	v_add_f16_e32 v104, v106, v28
	v_sub_f16_e32 v122, v96, v87
	v_add_f16_e32 v113, v97, v86
	v_sub_f16_e64 v165, v105, v101
	v_mul_f16_e64 v137, 0x394e, v121
	v_mul_f16_e64 v144, 0x3770, v121
	v_mul_f16_e32 v125, 0xbb7b, v121
	v_mul_f16_e64 v132, 0xbb7b, v161
	v_mul_f16_e64 v146, 0x394e, v161
	;; [unrolled: 1-line block ×5, first 2 shown]
	v_fma_f16 v92, 0xbbc4, v27, v139
	v_fma_f16 v93, 0xb5ac, v27, v145
	;; [unrolled: 1-line block ×3, first 2 shown]
	v_fma_f16 v193, v112, 0x2fb7, -v135
	v_fma_f16 v194, v112, 0xbbc4, -v150
	;; [unrolled: 1-line block ×3, first 2 shown]
	v_fma_f16 v196, 0x3b15, v27, v166
	v_fma_f16 v197, v112, 0x3b15, -v169
	v_add_f16_e32 v31, v90, v31
	v_add_f16_e32 v32, v91, v32
	v_add_f16_e64 v90, v182, v180
	v_add_f16_e64 v91, v183, v181
	;; [unrolled: 1-line block ×6, first 2 shown]
	v_add_f16_e32 v109, v105, v101
	v_sub_f16_e32 v124, v89, v88
	v_add_f16_e32 v114, v96, v87
	v_sub_f16_e64 v172, v103, v102
	v_mul_f16_e64 v131, 0x3bf1, v122
	v_mul_f16_e64 v143, 0xba95, v122
	v_mul_f16_e32 v126, 0xb94e, v122
	v_mul_f16_e64 v133, 0xb94e, v165
	v_mul_f16_e64 v147, 0x3bf1, v165
	;; [unrolled: 1-line block ×5, first 2 shown]
	v_fma_f16 v94, 0xb9fd, v104, v137
	v_fma_f16 v95, 0x3b15, v104, v144
	;; [unrolled: 1-line block ×3, first 2 shown]
	v_fma_f16 v199, v113, 0xb5ac, -v132
	v_fma_f16 v200, v113, 0xb9fd, -v146
	;; [unrolled: 1-line block ×3, first 2 shown]
	v_fma_f16 v202, 0x2fb7, v104, v167
	v_fma_f16 v203, v113, 0x2fb7, -v170
	v_add_f16_e32 v31, v92, v31
	v_add_f16_e32 v32, v93, v32
	v_add_f16_e64 v90, v192, v90
	v_add_f16_e64 v91, v193, v91
	;; [unrolled: 1-line block ×6, first 2 shown]
	v_add_f16_e32 v111, v103, v102
	v_add_f16_e32 v115, v89, v88
	v_mul_f16_e64 v130, 0x3770, v124
	v_mul_f16_e64 v141, 0xb94e, v124
	v_mul_f16_e32 v127, 0xb3a8, v124
	v_mul_f16_e64 v134, 0xb3a8, v172
	v_mul_f16_e64 v148, 0x3770, v172
	;; [unrolled: 1-line block ×5, first 2 shown]
	v_fma_f16 v176, 0x2fb7, v109, v131
	v_fma_f16 v177, 0x388b, v109, v143
	;; [unrolled: 1-line block ×3, first 2 shown]
	v_fma_f16 v205, v114, 0xb9fd, -v133
	v_fma_f16 v206, v114, 0x2fb7, -v147
	;; [unrolled: 1-line block ×3, first 2 shown]
	v_fma_f16 v208, 0xbbc4, v109, v163
	v_fma_f16 v209, v114, 0xbbc4, -v171
	v_add_f16_e32 v31, v94, v31
	v_add_f16_e32 v32, v95, v32
	v_add_f16_e64 v90, v198, v90
	v_add_f16_e64 v91, v199, v91
	v_add_f16_e64 v92, v200, v92
	v_add_f16_e64 v93, v201, v93
	v_add_f16_e64 v94, v202, v180
	v_add_f16_e64 v95, v203, v181
	v_fma_f16 v178, 0x3b15, v111, v130
	v_fma_f16 v179, 0xb9fd, v111, v141
	;; [unrolled: 1-line block ×3, first 2 shown]
	v_fma_f16 v211, v115, 0xbbc4, -v134
	v_fma_f16 v212, v115, 0x3b15, -v148
	;; [unrolled: 1-line block ×3, first 2 shown]
	v_fma_f16 v214, 0x388b, v111, v162
	v_fma_f16 v215, v115, 0x388b, -v173
	v_add_f16_e64 v31, v176, v31
	v_add_f16_e64 v176, v177, v32
	;; [unrolled: 1-line block ×16, first 2 shown]
	s_and_saveexec_b32 s0, vcc_lo
	s_cbranch_execz .LBB0_5
; %bb.4:
	v_mul_f16_e64 v177, 0x3b15, v21
	v_mul_f16_e64 v214, 0xb3a8, v118
	;; [unrolled: 1-line block ×3, first 2 shown]
	v_add_f16_e32 v110, v19, v110
	v_add_f16_e32 v100, v82, v100
	v_add_f16_e64 v136, v136, v177
	v_fma_f16 v219, 0xbbc4, v21, v214
	v_mul_f16_e64 v220, 0x3770, v120
	v_mul_f16_e64 v193, 0x2fb7, v112
	v_add_f16_e64 v138, v138, v185
	v_add_f16_e64 v136, v82, v136
	v_add_f16_e32 v108, v110, v108
	v_add_f16_e32 v99, v100, v99
	v_add_f16_e64 v219, v82, v219
	v_fma_f16 v224, 0x3b15, v23, v220
	v_mul_f16_e64 v225, 0xb94e, v160
	v_mul_f16_e64 v228, 0xb3a8, v116
	;; [unrolled: 1-line block ×4, first 2 shown]
	v_add_f16_e64 v136, v138, v136
	v_add_f16_e64 v135, v135, v193
	v_add_f16_e32 v107, v108, v107
	v_add_f16_e32 v98, v99, v98
	v_add_f16_e64 v219, v224, v219
	v_fma_f16 v224, 0xb9fd, v112, v225
	v_mul_f16_e64 v229, 0x3a95, v161
	v_fma_f16 v231, v20, 0xbbc4, -v228
	v_mul_f16_e64 v232, 0x3770, v117
	v_mul_f16_e64 v209, 0xb9fd, v114
	v_sub_f16_e64 v110, v221, v130
	v_add_f16_e64 v130, v135, v136
	v_add_f16_e64 v99, v132, v201
	v_add_f16_e32 v106, v107, v106
	v_add_f16_e32 v97, v98, v97
	v_add_f16_e64 v219, v224, v219
	v_fma_f16 v224, 0x388b, v113, v229
	v_mul_f16_e64 v233, 0xbb7b, v165
	v_add_f16_e64 v231, v19, v231
	v_fma_f16 v234, v22, 0x3b15, -v232
	v_mul_f16_e64 v235, 0xb94e, v119
	v_mul_f16_e64 v218, 0xbbc4, v115
	v_add_f16_e64 v98, v99, v130
	v_add_f16_e64 v99, v133, v209
	v_add_f16_e32 v105, v106, v105
	v_add_f16_e32 v96, v97, v96
	v_add_f16_e64 v219, v224, v219
	v_fma_f16 v224, 0xb5ac, v114, v233
	v_mul_f16_e64 v236, 0x3bf1, v172
	v_add_f16_e64 v231, v234, v231
	v_fma_f16 v234, v27, 0xb9fd, -v235
	v_mul_f16_e64 v237, 0x3a95, v121
	v_add_f16_e32 v98, v99, v98
	v_add_f16_e64 v99, v134, v218
	v_add_f16_e32 v103, v105, v103
	v_add_f16_e32 v89, v96, v89
	v_add_f16_e64 v219, v224, v219
	v_fma_f16 v224, 0x2fb7, v115, v236
	v_mul_f16_e32 v118, 0xb94e, v118
	v_add_f16_e64 v231, v234, v231
	v_fma_f16 v234, v104, 0x388b, -v237
	v_mul_f16_e64 v238, 0xbb7b, v122
	v_add_f16_e32 v98, v99, v98
	v_add_f16_e32 v99, v103, v102
	;; [unrolled: 1-line block ×3, first 2 shown]
	v_add_f16_e64 v219, v224, v219
	v_fma_f16 v224, 0xb9fd, v21, v118
	v_mul_f16_e32 v120, 0x3bf1, v120
	v_add_f16_e64 v231, v234, v231
	v_fma_f16 v234, v109, 0xb5ac, -v238
	v_mul_f16_e64 v239, 0x3bf1, v124
	v_mul_f16_e64 v180, 0x2fb7, v20
	v_add_f16_e32 v99, v99, v101
	v_add_f16_e32 v87, v88, v87
	v_mul_f16_e64 v176, 0x3b15, v20
	v_add_f16_e64 v224, v82, v224
	v_fma_f16 v240, 0x2fb7, v23, v120
	v_mul_f16_e64 v160, 0xba95, v160
	v_add_f16_e64 v231, v234, v231
	v_fma_f16 v234, v111, 0x2fb7, -v239
	v_mul_f16_e32 v116, 0xb94e, v116
	v_mul_f16_e64 v178, 0x388b, v20
	v_mul_f16_e64 v179, 0x388b, v21
	;; [unrolled: 1-line block ×4, first 2 shown]
	v_sub_f16_e64 v153, v180, v153
	v_add_f16_e32 v28, v99, v28
	v_add_f16_e32 v86, v87, v86
	v_mul_f16_e64 v182, 0xb5ac, v20
	v_mul_f16_e64 v183, 0xb5ac, v21
	;; [unrolled: 1-line block ×3, first 2 shown]
	v_add_f16_e64 v224, v240, v224
	v_fma_f16 v240, 0x388b, v112, v160
	v_mul_f16_e64 v161, 0x33a8, v161
	v_add_f16_e64 v231, v234, v231
	v_fma_f16 v234, v20, 0xb9fd, -v116
	v_mul_f16_e32 v117, 0x3bf1, v117
	v_sub_f16_e64 v108, v176, v123
	v_mul_f16_e64 v186, 0xb5ac, v22
	v_mul_f16_e64 v187, 0xb5ac, v23
	;; [unrolled: 1-line block ×4, first 2 shown]
	v_add_f16_e64 v159, v159, v181
	v_add_f16_e64 v153, v19, v153
	v_sub_f16_e64 v152, v188, v152
	v_add_f16_e64 v151, v151, v179
	v_sub_f16_e64 v142, v178, v142
	v_add_f16_e32 v25, v28, v25
	v_add_f16_e32 v28, v86, v84
	v_mul_f16_e64 v190, 0xb9fd, v22
	v_mul_f16_e64 v191, 0xb9fd, v23
	;; [unrolled: 1-line block ×3, first 2 shown]
	v_add_f16_e64 v224, v240, v224
	v_fma_f16 v240, 0xbbc4, v113, v161
	v_mul_f16_e64 v165, 0x3770, v165
	v_add_f16_e64 v234, v19, v234
	v_fma_f16 v241, v22, 0x2fb7, -v117
	v_mul_f16_e32 v119, 0xba95, v119
	v_add_f16_e64 v175, v175, v183
	v_sub_f16_e64 v168, v182, v168
	v_add_f16_e32 v107, v19, v108
	v_sub_f16_e64 v97, v184, v128
	v_mul_f16_e64 v194, 0xbbc4, v27
	v_mul_f16_e64 v195, 0xbbc4, v112
	v_mul_f16_e64 v197, 0xb5ac, v112
	v_mul_f16_e64 v204, 0x3b15, v104
	v_add_f16_e64 v159, v82, v159
	v_add_f16_e64 v158, v158, v189
	v_add_f16_e64 v152, v152, v153
	v_sub_f16_e64 v145, v196, v145
	v_add_f16_e64 v151, v82, v151
	v_add_f16_e64 v149, v149, v187
	;; [unrolled: 1-line block ×3, first 2 shown]
	v_sub_f16_e64 v140, v186, v140
	v_fma_f16 v89, v21, 0xbbc4, -v214
	v_add_f16_e32 v25, v25, v26
	v_add_f16_e32 v26, v28, v85
	v_fmac_f16_e64 v228, 0xbbc4, v20
	v_fma_f16 v21, v21, 0xb9fd, -v118
	v_fmac_f16_e32 v116, 0xb9fd, v20
	v_mul_f16_e64 v198, 0x3b15, v27
	v_mul_f16_e64 v199, 0x3b15, v112
	v_mul_f16_e64 v200, 0xb5ac, v104
	v_add_f16_e64 v224, v240, v224
	v_fma_f16 v240, 0x3b15, v114, v165
	v_add_f16_e64 v234, v241, v234
	v_fma_f16 v241, v27, 0x388b, -v119
	v_mul_f16_e32 v121, 0x33a8, v121
	v_add_f16_e64 v175, v82, v175
	v_add_f16_e64 v174, v174, v191
	;; [unrolled: 1-line block ×3, first 2 shown]
	v_sub_f16_e64 v164, v190, v164
	v_add_f16_e32 v96, v97, v107
	v_sub_f16_e64 v97, v192, v129
	v_mul_f16_e64 v202, 0xb9fd, v104
	v_mul_f16_e64 v203, 0xb9fd, v113
	;; [unrolled: 1-line block ×3, first 2 shown]
	v_add_f16_e64 v158, v158, v159
	v_add_f16_e64 v157, v157, v197
	;; [unrolled: 1-line block ×3, first 2 shown]
	v_sub_f16_e64 v144, v204, v144
	v_add_f16_e64 v149, v149, v151
	v_add_f16_e64 v150, v150, v195
	;; [unrolled: 1-line block ×3, first 2 shown]
	v_sub_f16_e64 v139, v194, v139
	v_add_f16_e32 v88, v82, v89
	v_fma_f16 v89, v23, 0x3b15, -v220
	v_add_f16_e32 v24, v25, v24
	v_add_f16_e32 v25, v26, v83
	v_add_f16_e64 v26, v19, v228
	v_fmac_f16_e64 v232, 0x3b15, v22
	v_add_f16_e32 v21, v82, v21
	v_fma_f16 v23, v23, 0x2fb7, -v120
	v_add_f16_e32 v19, v19, v116
	v_fmac_f16_e32 v117, 0x2fb7, v22
	v_mul_f16_e64 v206, 0x2fb7, v104
	v_mul_f16_e64 v207, 0x2fb7, v113
	;; [unrolled: 1-line block ×3, first 2 shown]
	v_add_f16_e64 v183, v240, v224
	v_add_f16_e64 v234, v241, v234
	v_fma_f16 v240, v104, 0xbbc4, -v121
	v_mul_f16_e32 v122, 0x3770, v122
	v_add_f16_e64 v174, v174, v175
	v_add_f16_e64 v169, v169, v199
	;; [unrolled: 1-line block ×3, first 2 shown]
	v_sub_f16_e64 v166, v198, v166
	v_add_f16_e32 v96, v97, v96
	v_sub_f16_e64 v97, v200, v125
	v_mul_f16_e64 v210, 0x2fb7, v109
	v_mul_f16_e64 v211, 0x2fb7, v114
	;; [unrolled: 1-line block ×4, first 2 shown]
	v_add_f16_e64 v157, v157, v158
	v_add_f16_e64 v154, v154, v205
	;; [unrolled: 1-line block ×6, first 2 shown]
	v_sub_f16_e64 v137, v202, v137
	v_add_f16_e32 v87, v89, v88
	v_fma_f16 v88, v112, 0xb9fd, -v225
	v_add_f16_e64 v20, v232, v26
	v_fmac_f16_e64 v235, 0xb9fd, v27
	v_add_f16_e32 v21, v23, v21
	v_fma_f16 v22, v112, 0x388b, -v160
	v_add_f16_e32 v19, v117, v19
	v_fmac_f16_e32 v119, 0x388b, v27
	v_mul_f16_e64 v215, 0xbbc4, v109
	v_mul_f16_e64 v216, 0xbbc4, v114
	v_mul_f16_e64 v217, 0xbbc4, v111
	v_add_f16_e64 v182, v240, v234
	v_fma_f16 v175, v109, 0x3b15, -v122
	v_mul_f16_e32 v124, 0xbb7b, v124
	v_add_f16_e64 v169, v169, v174
	v_add_f16_e64 v170, v170, v207
	;; [unrolled: 1-line block ×3, first 2 shown]
	v_sub_f16_e64 v166, v206, v167
	v_add_f16_e32 v96, v97, v96
	v_sub_f16_e64 v97, v208, v126
	v_mul_f16_e64 v222, 0x3b15, v115
	v_mul_f16_e64 v223, 0xb9fd, v111
	v_mul_f16_e64 v226, 0xb9fd, v115
	v_add_f16_e64 v153, v154, v157
	v_add_f16_e64 v154, v155, v213
	v_sub_f16_e64 v143, v212, v143
	v_add_f16_e64 v145, v146, v145
	v_add_f16_e64 v146, v147, v211
	;; [unrolled: 1-line block ×3, first 2 shown]
	v_sub_f16_e64 v131, v210, v131
	v_add_f16_e32 v84, v88, v87
	v_fma_f16 v86, v113, 0x388b, -v229
	v_add_f16_e64 v20, v235, v20
	v_fmac_f16_e64 v237, 0x388b, v104
	v_add_f16_e32 v21, v22, v21
	v_fma_f16 v22, v113, 0xbbc4, -v161
	v_add_f16_e32 v19, v119, v19
	v_fmac_f16_e32 v121, 0xbbc4, v104
	v_mul_f16_e64 v227, 0x388b, v111
	v_mul_f16_e64 v230, 0x388b, v115
	;; [unrolled: 1-line block ×3, first 2 shown]
	v_add_f16_e64 v168, v175, v182
	v_fma_f16 v174, v111, 0xb5ac, -v124
	v_add_f16_e64 v169, v170, v169
	v_add_f16_e64 v170, v171, v216
	;; [unrolled: 1-line block ×3, first 2 shown]
	v_sub_f16_e64 v163, v215, v163
	v_add_f16_e32 v89, v97, v96
	v_sub_f16_e64 v96, v217, v127
	v_add_f16_e64 v151, v154, v153
	v_add_f16_e64 v152, v156, v226
	;; [unrolled: 1-line block ×3, first 2 shown]
	v_sub_f16_e64 v141, v223, v141
	v_add_f16_e64 v142, v146, v145
	v_add_f16_e64 v144, v148, v222
	v_add_f16_e64 v100, v131, v137
	v_add_f16_e32 v28, v86, v84
	v_fma_f16 v84, v114, 0xb5ac, -v233
	v_add_f16_e64 v20, v237, v20
	v_fmac_f16_e64 v238, 0xb5ac, v109
	v_add_f16_e32 v21, v22, v21
	v_fma_f16 v22, v114, 0x3b15, -v165
	v_add_f16_e32 v19, v121, v19
	v_fmac_f16_e32 v122, 0x3b15, v109
	v_fma_f16 v224, 0xb5ac, v115, v172
	v_add_f16_e64 v167, v174, v168
	v_add_f16_e64 v168, v170, v169
	;; [unrolled: 1-line block ×4, first 2 shown]
	v_sub_f16_e64 v162, v227, v162
	v_add_f16_e32 v87, v96, v89
	v_mul_u32_u24_e32 v26, 0x75, v56
	v_add_f16_e64 v149, v152, v151
	v_add_f16_e64 v140, v141, v143
	;; [unrolled: 1-line block ×3, first 2 shown]
	v_add_f16_e32 v100, v110, v100
	v_add_f16_e32 v28, v84, v28
	v_fma_f16 v83, v115, 0x2fb7, -v236
	v_add_f16_e64 v20, v238, v20
	v_fmac_f16_e64 v239, 0x2fb7, v111
	v_add_f16_e32 v21, v22, v21
	v_fma_f16 v22, v115, 0xb5ac, -v172
	v_add_f16_e32 v19, v122, v19
	v_fmac_f16_e32 v124, 0xb5ac, v111
	v_add_f16_e64 v183, v224, v183
	v_add_f16_e64 v166, v169, v168
	;; [unrolled: 1-line block ×3, first 2 shown]
	v_add_lshl_u32 v26, v26, v55, 2
	v_pack_b32_f16 v24, v24, v25
	v_pack_b32_f16 v25, v87, v98
	v_add_f16_e32 v23, v83, v28
	v_pack_b32_f16 v27, v100, v141
	v_pack_b32_f16 v28, v140, v149
	v_add_f16_e64 v20, v239, v20
	v_add_f16_e32 v21, v22, v21
	v_add_f16_e32 v19, v124, v19
	ds_store_2addr_b32 v26, v24, v25 offset1:9
	ds_store_2addr_b32 v26, v27, v28 offset0:18 offset1:27
	v_pack_b32_f16 v22, v159, v166
	v_pack_b32_f16 v24, v167, v183
	;; [unrolled: 1-line block ×5, first 2 shown]
	v_perm_b32 v21, v90, v91, 0x5040100
	v_perm_b32 v23, v92, v31, 0x5040100
	v_perm_b32 v27, v94, v32, 0x5040100
	v_perm_b32 v28, v95, v93, 0x5040100
	ds_store_2addr_b32 v26, v22, v24 offset0:36 offset1:45
	ds_store_2addr_b32 v26, v25, v20 offset0:54 offset1:63
	;; [unrolled: 1-line block ×4, first 2 shown]
	ds_store_b32 v26, v28 offset:432
.LBB0_5:
	s_wait_alu 0xfffe
	s_or_b32 exec_lo, exec_lo, s0
	v_mul_u32_u24_e32 v21, 0x8c09, v81
	v_lshlrev_b32_e32 v84, 3, v47
	global_wb scope:SCOPE_SE
	s_wait_dscnt 0x0
	s_barrier_signal -1
	s_barrier_wait -1
	v_lshrrev_b32_e32 v21, 22, v21
	global_inv scope:SCOPE_SE
	global_load_b64 v[19:20], v84, s[10:11] offset:456
	v_add_nc_u32_e32 v98, 0x200, v35
	v_add_nc_u32_e32 v97, 0xa00, v35
	v_mul_lo_u16 v21, 0x75, v21
	v_add_nc_u32_e32 v96, 0x600, v35
	ds_load_2addr_b32 v[23:24], v35 offset1:117
	v_lshlrev_b32_e32 v86, 3, v80
	v_lshlrev_b32_e32 v88, 3, v79
	v_sub_nc_u16 v81, v79, v21
	s_delay_alu instid0(VALU_DEP_1) | instskip(SKIP_1) | instid1(VALU_DEP_2)
	v_lshlrev_b16 v21, 3, v81
	v_and_b32_e32 v79, 0xffff, v81
	v_and_b32_e32 v21, 0xffff, v21
	s_delay_alu instid0(VALU_DEP_2) | instskip(NEXT) | instid1(VALU_DEP_2)
	v_lshlrev_b32_e32 v79, 2, v79
	v_add_co_u32 v21, s0, s10, v21
	s_wait_alu 0xf1ff
	v_add_co_ci_u32_e64 v22, null, s11, 0, s0
	s_wait_dscnt 0x0
	v_lshrrev_b32_e32 v99, 16, v23
	v_lshrrev_b32_e32 v100, 16, v24
	v_add_nc_u32_e32 v106, 0xa00, v79
	global_load_b64 v[21:22], v[21:22], off offset:456
	ds_load_b32 v85, v35 offset:3744
	ds_load_2addr_b32 v[25:26], v98 offset0:106 offset1:223
	ds_load_2addr_b32 v[27:28], v97 offset0:62 offset1:179
	;; [unrolled: 1-line block ×3, first 2 shown]
	global_wb scope:SCOPE_SE
	s_wait_loadcnt_dscnt 0x0
	s_barrier_signal -1
	s_barrier_wait -1
	global_inv scope:SCOPE_SE
	s_add_nc_u64 s[0:1], s[8:9], 0x1074
	v_lshrrev_b32_e32 v101, 16, v85
	v_lshrrev_b32_e32 v87, 16, v26
	;; [unrolled: 1-line block ×9, first 2 shown]
	s_delay_alu instid0(VALU_DEP_2) | instskip(SKIP_1) | instid1(VALU_DEP_3)
	v_mul_f16_e32 v107, v87, v80
	v_mul_f16_e32 v108, v26, v80
	;; [unrolled: 1-line block ×8, first 2 shown]
	v_fma_f16 v26, v26, v19, -v107
	v_fmac_f16_e32 v108, v87, v19
	v_fma_f16 v27, v27, v20, -v109
	v_fmac_f16_e32 v110, v89, v20
	;; [unrolled: 2-line block ×4, first 2 shown]
	v_add_f16_e32 v87, v23, v26
	v_add_f16_e32 v89, v26, v27
	;; [unrolled: 1-line block ×5, first 2 shown]
	v_sub_f16_e32 v111, v112, v114
	v_add_f16_e32 v113, v100, v112
	v_add_f16_e32 v112, v112, v114
	v_sub_f16_e32 v102, v108, v110
	v_sub_f16_e32 v26, v26, v27
	v_add_f16_e32 v108, v24, v82
	v_sub_f16_e32 v82, v82, v28
	v_add_f16_e32 v27, v87, v27
	v_fma_f16 v23, -0.5, v89, v23
	v_add_f16_e32 v103, v103, v110
	v_fmac_f16_e32 v99, -0.5, v107
	v_fmac_f16_e32 v24, -0.5, v109
	;; [unrolled: 1-line block ×3, first 2 shown]
	v_lshrrev_b32_e32 v89, 16, v21
	v_lshrrev_b32_e32 v87, 16, v22
	v_add_f16_e32 v28, v108, v28
	v_fmamk_f16 v108, v102, 0x3aee, v23
	v_fmac_f16_e32 v23, 0xbaee, v102
	v_fmamk_f16 v102, v26, 0xbaee, v99
	v_fmac_f16_e32 v99, 0x3aee, v26
	;; [unrolled: 2-line block ×4, first 2 shown]
	v_pack_b32_f16 v27, v27, v103
	v_mul_f16_e32 v82, v105, v89
	v_mul_f16_e32 v103, v101, v87
	;; [unrolled: 1-line block ×4, first 2 shown]
	v_pack_b32_f16 v23, v23, v99
	v_fma_f16 v82, v83, v21, -v82
	v_fma_f16 v83, v85, v22, -v103
	v_fmac_f16_e32 v110, v105, v21
	v_fmac_f16_e32 v111, v101, v22
	v_pack_b32_f16 v85, v108, v102
	v_add_f16_e32 v101, v25, v82
	v_add_f16_e32 v99, v82, v83
	;; [unrolled: 1-line block ×4, first 2 shown]
	v_sub_f16_e32 v103, v110, v111
	v_sub_f16_e32 v82, v82, v83
	v_fmac_f16_e32 v25, -0.5, v99
	v_add_f16_e32 v107, v113, v114
	v_fmac_f16_e32 v104, -0.5, v102
	v_add_f16_e32 v83, v101, v83
	v_add_f16_e32 v99, v105, v111
	v_fmamk_f16 v101, v103, 0x3aee, v25
	v_fmac_f16_e32 v25, 0xbaee, v103
	v_fmamk_f16 v102, v82, 0xbaee, v104
	v_fmac_f16_e32 v104, 0x3aee, v82
	v_pack_b32_f16 v28, v28, v107
	v_pack_b32_f16 v26, v26, v109
	;; [unrolled: 1-line block ×6, first 2 shown]
	ds_store_2addr_b32 v35, v27, v85 offset1:117
	ds_store_2addr_b32 v98, v23, v28 offset0:106 offset1:223
	ds_store_2addr_b32 v96, v26, v24 offset0:84 offset1:201
	;; [unrolled: 1-line block ×3, first 2 shown]
	ds_store_b32 v79, v25 offset:3744
	global_wb scope:SCOPE_SE
	s_wait_dscnt 0x0
	s_barrier_signal -1
	s_barrier_wait -1
	global_inv scope:SCOPE_SE
	s_clause 0x2
	global_load_b64 v[27:28], v84, s[10:11] offset:1392
	global_load_b64 v[25:26], v86, s[10:11] offset:1392
	;; [unrolled: 1-line block ×3, first 2 shown]
	ds_load_2addr_b32 v[100:101], v35 offset1:117
	ds_load_2addr_b32 v[102:103], v98 offset0:106 offset1:223
	ds_load_2addr_b32 v[104:105], v97 offset0:62 offset1:179
	ds_load_2addr_b32 v[106:107], v96 offset0:84 offset1:201
	ds_load_b32 v108, v35 offset:3744
	v_add_nc_u32_e32 v99, 0xc00, v35
	s_wait_dscnt 0x4
	v_lshrrev_b32_e32 v109, 16, v100
	s_wait_dscnt 0x3
	v_lshrrev_b32_e32 v110, 16, v103
	;; [unrolled: 2-line block ×4, first 2 shown]
	v_lshrrev_b32_e32 v114, 16, v105
	v_lshrrev_b32_e32 v116, 16, v107
	s_wait_dscnt 0x0
	v_lshrrev_b32_e32 v117, 16, v108
	v_lshrrev_b32_e32 v115, 16, v102
	;; [unrolled: 1-line block ×3, first 2 shown]
	s_wait_loadcnt 0x2
	v_lshrrev_b32_e32 v88, 16, v27
	v_lshrrev_b32_e32 v86, 16, v28
	s_wait_loadcnt 0x1
	v_lshrrev_b32_e32 v85, 16, v25
	v_lshrrev_b32_e32 v84, 16, v26
	;; [unrolled: 3-line block ×3, first 2 shown]
	v_mul_f16_e32 v118, v110, v88
	v_mul_f16_e32 v119, v103, v88
	;; [unrolled: 1-line block ×10, first 2 shown]
	v_mul_f16_e64 v128, v117, v82
	v_mul_f16_e64 v129, v108, v82
	v_fma_f16 v103, v103, v27, -v118
	v_fmac_f16_e32 v119, v110, v27
	v_fma_f16 v104, v104, v28, -v120
	v_fmac_f16_e32 v121, v111, v28
	;; [unrolled: 2-line block ×5, first 2 shown]
	v_fma_f16 v108, v108, v24, -v128
	v_fmac_f16_e64 v129, v117, v24
	v_add_f16_e32 v111, v103, v104
	v_add_f16_e32 v116, v119, v121
	;; [unrolled: 1-line block ×5, first 2 shown]
	v_sub_f16_e64 v126, v127, v129
	v_add_f16_e64 v128, v115, v127
	v_add_f16_e64 v127, v127, v129
	v_add_f16_e32 v110, v100, v103
	v_sub_f16_e32 v113, v119, v121
	v_add_f16_e32 v114, v109, v119
	v_sub_f16_e32 v103, v103, v104
	v_sub_f16_e32 v119, v123, v125
	v_add_f16_e32 v120, v112, v123
	v_add_f16_e32 v123, v102, v107
	v_fma_f16 v100, -0.5, v111, v100
	v_fmac_f16_e32 v109, -0.5, v116
	v_add_f16_e32 v117, v101, v106
	v_sub_f16_e32 v106, v106, v105
	v_sub_f16_e32 v107, v107, v108
	v_fmac_f16_e32 v101, -0.5, v118
	v_fmac_f16_e32 v112, -0.5, v122
	;; [unrolled: 1-line block ×4, first 2 shown]
	v_add_f16_e32 v104, v110, v104
	v_add_f16_e32 v110, v114, v121
	;; [unrolled: 1-line block ×3, first 2 shown]
	v_add_f16_e64 v114, v128, v129
	v_fmamk_f16 v116, v113, 0x3aee, v100
	v_fmac_f16_e32 v100, 0xbaee, v113
	v_fmamk_f16 v113, v103, 0xbaee, v109
	v_fmac_f16_e32 v109, 0x3aee, v103
	v_add_f16_e32 v105, v117, v105
	v_add_f16_e32 v111, v120, v125
	v_fmamk_f16 v103, v119, 0x3aee, v101
	v_fmamk_f16 v117, v106, 0xbaee, v112
	v_fmac_f16_e32 v112, 0x3aee, v106
	v_fmamk_f16 v106, v126, 0x3aee, v102
	v_fmamk_f16 v118, v107, 0xbaee, v115
	v_fmac_f16_e32 v101, 0xbaee, v119
	v_fmac_f16_e32 v102, 0xbaee, v126
	;; [unrolled: 1-line block ×3, first 2 shown]
	v_pack_b32_f16 v107, v108, v114
	v_pack_b32_f16 v108, v116, v113
	v_pack_b32_f16 v100, v100, v109
	v_pack_b32_f16 v104, v104, v110
	v_pack_b32_f16 v105, v105, v111
	v_pack_b32_f16 v103, v103, v117
	v_pack_b32_f16 v106, v106, v118
	v_pack_b32_f16 v101, v101, v112
	v_pack_b32_f16 v102, v102, v115
	ds_store_b32 v35, v108 offset:1404
	ds_store_b32 v35, v100 offset:2808
	ds_store_2addr_b32 v35, v104, v105 offset1:117
	ds_store_b32 v35, v107 offset:936
	ds_store_2addr_b32 v96, v103, v106 offset0:84 offset1:201
	ds_store_2addr_b32 v99, v101, v102 offset0:51 offset1:168
	global_wb scope:SCOPE_SE
	s_wait_dscnt 0x0
	s_barrier_signal -1
	s_barrier_wait -1
	global_inv scope:SCOPE_SE
	global_load_b32 v100, v[29:30], off offset:4212
	v_lshlrev_b32_e32 v29, 2, v47
	s_clause 0x7
	global_load_b32 v108, v29, s[0:1] offset:1404
	global_load_b32 v109, v29, s[0:1] offset:468
	;; [unrolled: 1-line block ×8, first 2 shown]
	ds_load_2addr_b32 v[29:30], v35 offset1:117
	ds_load_b32 v116, v35 offset:3744
	s_wait_dscnt 0x1
	v_lshrrev_b32_e32 v101, 16, v29
	v_lshrrev_b32_e32 v117, 16, v30
	s_wait_dscnt 0x0
	v_lshrrev_b32_e32 v118, 16, v116
	s_wait_loadcnt 0x7
	v_lshrrev_b32_e32 v119, 16, v108
	v_lshrrev_b32_e32 v102, 16, v100
	s_wait_loadcnt 0x5
	v_lshrrev_b32_e32 v120, 16, v110
	s_wait_loadcnt 0x4
	;; [unrolled: 2-line block ×3, first 2 shown]
	v_lshrrev_b32_e32 v124, 16, v112
	v_mul_f16_e32 v103, v101, v102
	v_mul_f16_e32 v102, v29, v102
	;; [unrolled: 1-line block ×4, first 2 shown]
	s_delay_alu instid0(VALU_DEP_4) | instskip(NEXT) | instid1(VALU_DEP_4)
	v_fma_f16 v29, v29, v100, -v103
	v_fmac_f16_e32 v102, v101, v100
	v_add_nc_u32_e32 v101, 0x400, v35
	s_delay_alu instid0(VALU_DEP_4) | instskip(SKIP_1) | instid1(VALU_DEP_4)
	v_fmac_f16_e32 v120, v118, v110
	v_add_nc_u32_e32 v100, 0x800, v35
	v_pack_b32_f16 v29, v29, v102
	ds_store_b32 v35, v29
	ds_load_2addr_b32 v[102:103], v98 offset0:106 offset1:223
	ds_load_2addr_b32 v[104:105], v97 offset0:62 offset1:179
	;; [unrolled: 1-line block ×3, first 2 shown]
	v_lshrrev_b32_e32 v29, 16, v109
	s_delay_alu instid0(VALU_DEP_1) | instskip(SKIP_1) | instid1(VALU_DEP_2)
	v_mul_f16_e32 v122, v117, v29
	v_mul_f16_e32 v29, v30, v29
	v_fma_f16 v30, v30, v109, -v122
	s_delay_alu instid0(VALU_DEP_2)
	v_fmac_f16_e32 v29, v117, v109
	v_fma_f16 v109, v116, v110, -v123
	s_wait_loadcnt 0x0
	v_lshrrev_b32_e32 v116, 16, v115
	v_lshrrev_b32_e32 v117, 16, v114
	;; [unrolled: 1-line block ×3, first 2 shown]
	v_pack_b32_f16 v29, v30, v29
	v_pack_b32_f16 v30, v109, v120
	s_wait_dscnt 0x2
	v_lshrrev_b32_e32 v109, 16, v103
	v_mul_f16_e32 v118, v103, v119
	s_wait_dscnt 0x1
	v_lshrrev_b32_e32 v120, 16, v104
	v_mul_f16_e32 v122, v104, v121
	s_wait_dscnt 0x0
	v_lshrrev_b32_e32 v123, 16, v106
	v_lshrrev_b32_e32 v128, 16, v102
	;; [unrolled: 1-line block ×4, first 2 shown]
	v_mul_f16_e32 v125, v106, v124
	v_mul_f16_e32 v119, v109, v119
	v_fmac_f16_e32 v118, v109, v108
	v_mul_f16_e32 v109, v120, v121
	v_fmac_f16_e32 v122, v120, v111
	v_mul_f16_e32 v120, v123, v124
	v_mul_f16_e64 v129, v102, v116
	v_mul_f16_e64 v116, v128, v116
	;; [unrolled: 1-line block ×4, first 2 shown]
	v_mul_f16_e32 v127, v105, v110
	v_mul_f16_e32 v110, v126, v110
	v_fmac_f16_e32 v125, v123, v112
	v_fma_f16 v103, v103, v108, -v119
	v_fma_f16 v106, v106, v112, -v120
	v_fmac_f16_e64 v129, v128, v115
	v_fma_f16 v102, v102, v115, -v116
	v_fmac_f16_e64 v131, v130, v114
	v_fma_f16 v104, v104, v111, -v109
	v_fma_f16 v107, v107, v114, -v117
	v_fmac_f16_e32 v127, v126, v113
	v_fma_f16 v105, v105, v113, -v110
	v_pack_b32_f16 v103, v103, v118
	v_pack_b32_f16 v106, v106, v125
	;; [unrolled: 1-line block ×6, first 2 shown]
	ds_store_2addr_b32 v101, v103, v106 offset0:95 offset1:212
	ds_store_2addr_b32 v35, v29, v102 offset0:117 offset1:234
	;; [unrolled: 1-line block ×4, first 2 shown]
	global_wb scope:SCOPE_SE
	s_wait_dscnt 0x0
	s_barrier_signal -1
	s_barrier_wait -1
	global_inv scope:SCOPE_SE
	ds_load_2addr_b32 v[29:30], v35 offset1:117
	ds_load_2addr_b32 v[102:103], v96 offset0:84 offset1:201
	ds_load_2addr_b32 v[104:105], v97 offset0:62 offset1:179
	;; [unrolled: 1-line block ×3, first 2 shown]
	ds_load_b32 v108, v35 offset:3744
	global_wb scope:SCOPE_SE
	s_wait_dscnt 0x0
	s_barrier_signal -1
	s_barrier_wait -1
	global_inv scope:SCOPE_SE
	v_pk_add_f16 v109, v30, v102
	v_pk_add_f16 v110, v102, v105
	v_pk_add_f16 v102, v102, v105 neg_lo:[0,1] neg_hi:[0,1]
	v_pk_add_f16 v112, v29, v107
	v_pk_add_f16 v113, v107, v104
	v_pk_add_f16 v107, v107, v104 neg_lo:[0,1] neg_hi:[0,1]
	;; [unrolled: 3-line block ×3, first 2 shown]
	v_pk_fma_f16 v30, v110, 0.5, v30 op_sel_hi:[1,0,1] neg_lo:[1,0,0] neg_hi:[1,0,0]
	v_pk_mul_f16 v102, 0x3aee, v102 op_sel_hi:[0,1]
	v_pk_fma_f16 v29, v113, 0.5, v29 op_sel_hi:[1,0,1] neg_lo:[1,0,0] neg_hi:[1,0,0]
	v_pk_mul_f16 v107, 0x3aee, v107 op_sel_hi:[0,1]
	;; [unrolled: 2-line block ×3, first 2 shown]
	v_pk_add_f16 v105, v109, v105
	v_pk_add_f16 v109, v30, v102 op_sel:[0,1] op_sel_hi:[1,0] neg_lo:[0,1] neg_hi:[0,1]
	v_pk_add_f16 v30, v30, v102 op_sel:[0,1] op_sel_hi:[1,0]
	v_pk_add_f16 v102, v29, v107 op_sel:[0,1] op_sel_hi:[1,0] neg_lo:[0,1] neg_hi:[0,1]
	v_pk_add_f16 v29, v29, v107 op_sel:[0,1] op_sel_hi:[1,0]
	;; [unrolled: 2-line block ×3, first 2 shown]
	v_pk_add_f16 v104, v112, v104
	v_bfi_b32 v106, 0xffff, v109, v30
	v_bfi_b32 v110, 0xffff, v102, v29
	;; [unrolled: 1-line block ×4, first 2 shown]
	v_pk_add_f16 v108, v111, v108
	v_bfi_b32 v102, 0xffff, v107, v103
	v_bfi_b32 v103, 0xffff, v103, v107
	ds_store_2addr_b32 v33, v104, v110 offset1:1
	ds_store_b32 v33, v29 offset:8
	ds_store_2addr_b32 v62, v105, v106 offset1:1
	ds_store_b32 v62, v30 offset:8
	;; [unrolled: 2-line block ×3, first 2 shown]
	global_wb scope:SCOPE_SE
	s_wait_dscnt 0x0
	s_barrier_signal -1
	s_barrier_wait -1
	global_inv scope:SCOPE_SE
	ds_load_2addr_b32 v[29:30], v35 offset1:117
	ds_load_2addr_b32 v[33:34], v98 offset0:106 offset1:223
	ds_load_2addr_b32 v[103:104], v97 offset0:62 offset1:179
	;; [unrolled: 1-line block ×3, first 2 shown]
	ds_load_b32 v62, v35 offset:3744
	global_wb scope:SCOPE_SE
	s_wait_dscnt 0x0
	s_barrier_signal -1
	s_barrier_wait -1
	global_inv scope:SCOPE_SE
	v_lshrrev_b32_e32 v97, 16, v30
	v_lshrrev_b32_e32 v107, 16, v34
	;; [unrolled: 1-line block ×5, first 2 shown]
	v_mul_f16_e32 v113, v72, v34
	v_lshrrev_b32_e32 v111, 16, v106
	v_lshrrev_b32_e32 v112, 16, v62
	v_mul_f16_e32 v115, v70, v105
	v_mul_f16_e32 v116, v69, v104
	;; [unrolled: 1-line block ×6, first 2 shown]
	v_fma_f16 v107, v17, v107, -v113
	v_mul_f16_e32 v113, v70, v109
	v_mul_f16_e32 v69, v69, v110
	;; [unrolled: 1-line block ×3, first 2 shown]
	v_fma_f16 v70, v15, v109, -v115
	v_fma_f16 v109, v16, v110, -v116
	v_mul_f16_e32 v68, v68, v111
	v_fma_f16 v110, v13, v111, -v117
	v_mul_f16_e32 v111, v67, v112
	v_fma_f16 v108, v18, v108, -v114
	v_fmac_f16_e32 v72, v17, v34
	v_fmac_f16_e32 v71, v18, v103
	v_lshrrev_b32_e32 v102, 16, v29
	v_fmac_f16_e32 v113, v15, v105
	v_fmac_f16_e32 v69, v16, v104
	v_fma_f16 v67, v14, v112, -v118
	v_fmac_f16_e32 v68, v13, v106
	v_fmac_f16_e32 v111, v14, v62
	v_add_f16_e32 v15, v97, v70
	v_add_f16_e32 v14, v107, v108
	;; [unrolled: 1-line block ×4, first 2 shown]
	v_lshrrev_b32_e32 v98, 16, v33
	v_sub_f16_e32 v16, v107, v108
	v_add_f16_e32 v13, v102, v107
	v_add_f16_e32 v107, v113, v69
	v_sub_f16_e32 v34, v70, v109
	v_add_f16_e32 v104, v110, v67
	v_add_f16_e32 v70, v15, v109
	;; [unrolled: 1-line block ×4, first 2 shown]
	v_fmac_f16_e32 v102, -0.5, v14
	v_sub_f16_e32 v14, v72, v71
	v_fmac_f16_e32 v97, -0.5, v17
	v_fma_f16 v17, -0.5, v106, v29
	v_add_f16_e32 v18, v98, v110
	v_add_f16_e32 v72, v30, v113
	v_sub_f16_e32 v15, v113, v69
	v_fmac_f16_e32 v30, -0.5, v107
	v_sub_f16_e32 v103, v110, v67
	v_add_f16_e32 v62, v13, v108
	v_add_f16_e32 v108, v33, v68
	v_fmac_f16_e32 v98, -0.5, v104
	v_sub_f16_e32 v104, v68, v111
	v_fmac_f16_e32 v33, -0.5, v109
	v_add_f16_e32 v13, v105, v71
	v_fmamk_f16 v71, v14, 0x3aee, v102
	v_fmac_f16_e32 v102, 0xbaee, v14
	v_fmamk_f16 v14, v16, 0xbaee, v17
	v_fmac_f16_e32 v17, 0x3aee, v16
	v_add_f16_e32 v67, v18, v67
	v_add_f16_e32 v18, v72, v69
	v_fmamk_f16 v69, v15, 0x3aee, v97
	v_fmamk_f16 v29, v34, 0xbaee, v30
	v_fmac_f16_e32 v97, 0xbaee, v15
	v_fmac_f16_e32 v30, 0x3aee, v34
	v_add_f16_e32 v15, v108, v111
	v_fmamk_f16 v68, v104, 0x3aee, v98
	v_fmamk_f16 v16, v103, 0xbaee, v33
	v_fmac_f16_e32 v98, 0xbaee, v104
	v_fmac_f16_e32 v33, 0x3aee, v103
	v_pack_b32_f16 v34, v13, v62
	v_pack_b32_f16 v104, v14, v71
	;; [unrolled: 1-line block ×9, first 2 shown]
	ds_store_2addr_b32 v59, v34, v104 offset1:3
	ds_store_b32 v59, v105 offset:24
	ds_store_2addr_b32 v58, v72, v106 offset1:3
	ds_store_b32 v58, v107 offset:24
	;; [unrolled: 2-line block ×3, first 2 shown]
	global_wb scope:SCOPE_SE
	s_wait_dscnt 0x0
	s_barrier_signal -1
	s_barrier_wait -1
	global_inv scope:SCOPE_SE
	s_and_saveexec_b32 s0, vcc_lo
	s_cbranch_execz .LBB0_7
; %bb.6:
	ds_load_2addr_b32 v[13:14], v35 offset1:81
	ds_load_2addr_b32 v[17:18], v35 offset0:162 offset1:243
	ds_load_2addr_b32 v[29:30], v101 offset0:68 offset1:149
	;; [unrolled: 1-line block ×5, first 2 shown]
	ds_load_b32 v93, v35 offset:3888
	s_wait_dscnt 0x6
	v_lshrrev_b32_e32 v62, 16, v13
	v_lshrrev_b32_e32 v71, 16, v14
	s_wait_dscnt 0x5
	v_lshrrev_b32_e32 v102, 16, v17
	v_lshrrev_b32_e32 v70, 16, v18
	;; [unrolled: 3-line block ×6, first 2 shown]
	s_wait_dscnt 0x0
	v_lshrrev_b32_e32 v95, 16, v93
	v_mov_b32_e32 v91, v34
.LBB0_7:
	s_wait_alu 0xfffe
	s_or_b32 exec_lo, exec_lo, s0
	global_wb scope:SCOPE_SE
	s_barrier_signal -1
	s_barrier_wait -1
	global_inv scope:SCOPE_SE
	s_and_saveexec_b32 s0, vcc_lo
	s_cbranch_execz .LBB0_9
; %bb.8:
	v_mul_f16_e32 v34, v78, v93
	v_mul_f16_e32 v57, v76, v14
	;; [unrolled: 1-line block ×5, first 2 shown]
	v_fma_f16 v34, v11, v95, -v34
	v_fma_f16 v72, v4, v71, -v57
	v_mul_f16_e32 v71, v76, v71
	v_mul_f16_e32 v57, v78, v95
	v_fma_f16 v58, v10, v94, -v58
	v_fma_f16 v59, v5, v102, -v59
	v_add_f16_e32 v76, v34, v72
	v_mul_f16_e32 v77, v77, v94
	v_fmac_f16_e32 v71, v4, v14
	v_fmac_f16_e32 v57, v11, v93
	v_add_f16_e32 v78, v58, v59
	v_fmac_f16_e32 v75, v5, v17
	v_fmac_f16_e32 v77, v10, v32
	v_mul_f16_e32 v32, 0xbbc4, v76
	v_sub_f16_e32 v5, v71, v57
	v_mul_f16_e32 v93, 0x3b15, v78
	v_mul_f16_e32 v14, v74, v31
	v_sub_f16_e32 v4, v75, v77
	v_mul_f16_e32 v17, v73, v18
	v_fmamk_f16 v10, v5, 0x33a8, v32
	v_mul_f16_e32 v73, v73, v70
	v_fma_f16 v94, v9, v92, -v14
	v_fmamk_f16 v11, v4, 0xb770, v93
	v_fma_f16 v70, v6, v70, -v17
	v_add_f16_e32 v10, v62, v10
	v_mul_f16_e32 v74, v74, v92
	v_mul_f16_e32 v14, v65, v29
	v_fmac_f16_e32 v73, v6, v18
	v_add_f16_e32 v92, v94, v70
	v_add_f16_e32 v10, v11, v10
	v_mul_f16_e32 v11, v66, v91
	v_fmac_f16_e32 v74, v9, v31
	v_fma_f16 v31, v7, v69, -v14
	v_mul_f16_e32 v65, v65, v69
	v_mul_f16_e32 v66, v66, v90
	v_fma_f16 v18, v8, v90, -v11
	v_mul_f16_e32 v69, 0xb9fd, v92
	v_sub_f16_e32 v6, v73, v74
	v_fmac_f16_e32 v65, v7, v29
	v_fmac_f16_e32 v66, v8, v91
	v_add_f16_e32 v90, v18, v31
	v_mul_f16_e32 v8, v64, v33
	v_mul_f16_e32 v64, v64, v98
	;; [unrolled: 1-line block ×3, first 2 shown]
	v_fmamk_f16 v11, v6, 0x394e, v69
	v_mul_f16_e32 v29, 0x388b, v90
	v_sub_f16_e32 v7, v65, v66
	v_fma_f16 v91, v3, v98, -v8
	v_fmac_f16_e32 v64, v3, v33
	v_mul_f16_e32 v3, v60, v16
	v_sub_f16_e32 v33, v72, v34
	v_fma_f16 v95, v0, v97, -v9
	v_mul_f16_e32 v63, v63, v97
	v_add_f16_e32 v8, v11, v10
	v_fmamk_f16 v9, v7, 0xba95, v29
	v_mul_f16_e32 v10, v61, v15
	v_fma_f16 v97, v2, v68, -v3
	v_add_f16_e32 v3, v57, v71
	v_mul_f16_e32 v99, 0xb3a8, v33
	v_sub_f16_e32 v100, v59, v58
	v_fma_f16 v98, v1, v67, -v10
	v_add_f16_e32 v14, v9, v8
	v_add_f16_e32 v8, v77, v75
	v_fmamk_f16 v9, v3, 0xbbc4, v99
	v_mul_f16_e32 v102, 0x3770, v100
	v_mul_f16_e32 v61, v61, v67
	v_sub_f16_e32 v67, v70, v94
	v_add_f16_e32 v96, v91, v95
	v_fmac_f16_e32 v63, v0, v30
	v_mul_f16_e32 v60, v60, v68
	v_add_f16_e32 v10, v13, v9
	v_fmamk_f16 v11, v8, 0x3b15, v102
	v_add_f16_e32 v9, v74, v73
	v_mul_f16_e32 v68, 0xb94e, v67
	v_sub_f16_e32 v103, v31, v18
	v_mul_f16_e32 v30, 0xb5ac, v96
	v_sub_f16_e32 v0, v63, v64
	v_add_f16_e32 v101, v97, v98
	v_fmac_f16_e32 v61, v1, v15
	v_fmac_f16_e32 v60, v2, v16
	v_add_f16_e32 v2, v11, v10
	v_fmamk_f16 v11, v9, 0xb9fd, v68
	v_add_f16_e32 v10, v66, v65
	v_mul_f16_e32 v104, 0x3a95, v103
	v_sub_f16_e32 v106, v95, v91
	v_fmamk_f16 v17, v0, 0x3b7b, v30
	v_mul_f16_e32 v105, 0x2fb7, v101
	v_sub_f16_e32 v1, v61, v60
	v_add_f16_e32 v2, v11, v2
	v_fmamk_f16 v15, v10, 0x388b, v104
	v_add_f16_e32 v11, v64, v63
	v_mul_f16_e32 v107, 0xbb7b, v106
	v_mul_f16_e32 v108, 0xb9fd, v76
	v_add_f16_e32 v14, v17, v14
	v_fmamk_f16 v16, v1, 0xbbf1, v105
	v_add_f16_e32 v15, v15, v2
	v_fmamk_f16 v17, v11, 0xb5ac, v107
	v_fmamk_f16 v109, v5, 0x394e, v108
	v_mul_f16_e32 v110, 0x2fb7, v78
	v_add_f16_e32 v2, v16, v14
	v_sub_f16_e32 v111, v98, v97
	v_add_f16_e32 v15, v17, v15
	v_add_f16_e32 v16, v62, v109
	v_fmamk_f16 v17, v4, 0xbbf1, v110
	v_mul_f16_e32 v109, 0x388b, v92
	v_mul_f16_e32 v113, 0xb94e, v33
	v_add_f16_e32 v14, v60, v61
	v_mul_f16_e32 v112, 0x3bf1, v111
	v_add_f16_e32 v16, v17, v16
	v_fmamk_f16 v17, v6, 0x3a95, v109
	v_mul_f16_e32 v114, 0xbbc4, v90
	v_fmamk_f16 v116, v3, 0xb9fd, v113
	v_mul_f16_e32 v117, 0x3bf1, v100
	v_fmamk_f16 v115, v14, 0x2fb7, v112
	v_add_f16_e32 v16, v17, v16
	v_fmamk_f16 v17, v7, 0xb3a8, v114
	v_mul_f16_e32 v118, 0x3b15, v96
	v_add_f16_e32 v116, v13, v116
	v_fmamk_f16 v119, v8, 0x2fb7, v117
	v_mul_f16_e32 v120, 0xba95, v67
	v_add_f16_e32 v16, v17, v16
	v_fmamk_f16 v17, v0, 0xb770, v118
	v_add_f16_e32 v15, v115, v15
	v_add_f16_e32 v115, v119, v116
	v_fmamk_f16 v116, v9, 0x388b, v120
	v_mul_f16_e32 v119, 0x33a8, v103
	v_add_f16_e32 v16, v17, v16
	v_mul_f16_e32 v127, 0xbb7b, v33
	v_mul_f16_e64 v131, 0x394e, v100
	v_add_f16_e32 v17, v116, v115
	v_fmamk_f16 v115, v10, 0xbbc4, v119
	v_mul_f16_e32 v116, 0x3770, v106
	v_fma_f16 v130, 0xb5ac, v3, v127
	v_fma_f16 v133, 0xb9fd, v8, v131
	v_mul_f16_e64 v134, 0x3770, v67
	v_add_f16_e32 v17, v115, v17
	v_fmamk_f16 v115, v11, 0x3b15, v116
	v_add_f16_e64 v130, v13, v130
	v_mul_f16_e64 v136, 0x33a8, v106
	v_mul_f16_e64 v141, 0xbbf1, v33
	;; [unrolled: 1-line block ×3, first 2 shown]
	v_add_f16_e32 v17, v115, v17
	v_mul_f16_e32 v115, 0xbb7b, v111
	v_mul_f16_e64 v148, 0x3b7b, v67
	v_fma_f16 v144, 0x2fb7, v3, v141
	v_fma_f16 v147, 0xbbc4, v8, v145
	v_add_f16_e32 v71, v13, v71
	v_fma_f16 v129, 0xb5ac, v14, v115
	v_mul_f16_e64 v150, 0xba95, v106
	v_add_f16_e64 v144, v13, v144
	v_add_f16_e32 v72, v72, v62
	v_add_f16_e32 v71, v75, v71
	v_add_f16_e64 v17, v129, v17
	v_add_f16_e64 v129, v133, v130
	v_fma_f16 v130, 0x3b15, v9, v134
	v_mul_f16_e64 v133, 0xbbf1, v103
	v_add_f16_e32 v71, v73, v71
	v_add_f16_e32 v59, v59, v72
	v_mul_f16_e32 v73, 0xba95, v100
	v_add_f16_e64 v129, v130, v129
	v_fma_f16 v130, 0x2fb7, v10, v133
	v_add_f16_e32 v65, v65, v71
	v_add_f16_e32 v59, v70, v59
	v_mul_f16_e64 v161, 0xb3a8, v67
	v_fmamk_f16 v71, v8, 0x388b, v73
	v_add_f16_e64 v129, v130, v129
	v_fma_f16 v130, 0xbbc4, v11, v136
	v_add_f16_e32 v63, v63, v65
	v_add_f16_e32 v31, v31, v59
	v_mul_f16_e32 v67, 0xbbf1, v67
	v_mul_f16_e32 v121, 0xb5ac, v101
	v_add_f16_e64 v129, v130, v129
	v_mul_f16_e64 v130, 0x3a95, v111
	v_add_f16_e32 v61, v61, v63
	v_add_f16_e32 v31, v95, v31
	v_mul_f16_e32 v63, 0xbb7b, v103
	v_mul_f16_e32 v122, 0xb5ac, v76
	v_fma_f16 v143, 0x388b, v14, v130
	v_add_f16_e32 v60, v60, v61
	v_add_f16_e32 v31, v98, v31
	v_fmamk_f16 v61, v10, 0xb5ac, v63
	v_fmamk_f16 v123, v1, 0x3b7b, v121
	v_add_f16_e64 v129, v143, v129
	v_add_f16_e64 v143, v147, v144
	v_fma_f16 v144, 0xb5ac, v9, v148
	v_mul_f16_e64 v147, 0x3770, v103
	v_add_f16_e32 v60, v64, v60
	v_add_f16_e32 v31, v97, v31
	v_fmamk_f16 v124, v5, 0x3b7b, v122
	v_add_f16_e64 v143, v144, v143
	v_fma_f16 v144, 0x3b15, v10, v147
	v_add_f16_e32 v60, v66, v60
	v_add_f16_e32 v31, v91, v31
	v_mul_f16_e32 v125, 0xb9fd, v78
	v_fmac_f16_e32 v32, 0xb3a8, v5
	v_add_f16_e64 v143, v144, v143
	v_fma_f16 v144, 0x388b, v11, v150
	v_add_f16_e32 v60, v74, v60
	v_add_f16_e32 v18, v18, v31
	;; [unrolled: 1-line block ×4, first 2 shown]
	v_add_f16_e64 v143, v144, v143
	v_mul_f16_e64 v144, 0xba95, v33
	v_mul_f16_e32 v33, 0xb770, v33
	v_fmamk_f16 v124, v4, 0xb94e, v125
	v_mul_f16_e32 v126, 0x3b15, v92
	v_add_f16_e32 v31, v62, v32
	v_fmac_f16_e32 v93, 0x3770, v4
	v_fmamk_f16 v72, v3, 0x3b15, v33
	v_add_f16_e32 v60, v77, v60
	v_add_f16_e32 v18, v94, v18
	;; [unrolled: 1-line block ×3, first 2 shown]
	v_fmamk_f16 v124, v6, 0xb770, v126
	v_add_f16_e32 v70, v13, v72
	v_mul_f16_e64 v128, 0x2fb7, v90
	v_add_f16_e32 v31, v93, v31
	v_fmac_f16_e32 v69, 0xb94e, v6
	v_add_f16_e32 v57, v57, v60
	v_add_f16_e32 v65, v71, v70
	v_fmamk_f16 v70, v9, 0x2fb7, v67
	v_add_f16_e32 v18, v58, v18
	v_fma_f16 v60, v8, 0x3b15, -v102
	v_add_f16_e32 v123, v124, v123
	v_fma_f16 v124, 0x3bf1, v7, v128
	v_add_f16_e32 v65, v70, v65
	v_mul_f16_e32 v70, 0xb94e, v106
	v_mul_f16_e64 v132, 0xbbc4, v96
	v_add_f16_e32 v31, v69, v31
	v_fmac_f16_e32 v29, 0x3a95, v7
	v_add_f16_e32 v61, v61, v65
	v_fmamk_f16 v64, v11, 0xb9fd, v70
	v_mul_f16_e32 v65, 0xb3a8, v111
	v_add_f16_e32 v18, v34, v18
	v_fmac_f16_e32 v108, 0xb94e, v5
	v_add_f16_e32 v123, v124, v123
	v_add_f16_e32 v61, v64, v61
	v_fmamk_f16 v64, v14, 0xbbc4, v65
	v_fma_f16 v124, 0xb3a8, v0, v132
	v_add_f16_e32 v29, v29, v31
	v_fmac_f16_e32 v30, 0xbb7b, v0
	v_add_f16_e32 v31, v62, v108
	v_add_f16_e32 v32, v64, v61
	v_fma_f16 v61, v3, 0xbbc4, -v99
	v_fmac_f16_e32 v110, 0x3bf1, v4
	v_add_f16_e32 v123, v124, v123
	v_mul_f16_e32 v124, 0x388b, v101
	v_mul_f16_e64 v135, 0x2fb7, v76
	v_add_f16_e32 v58, v13, v61
	v_add_f16_e32 v29, v30, v29
	;; [unrolled: 1-line block ×3, first 2 shown]
	v_fma_f16 v137, 0xba95, v1, v124
	v_fma_f16 v138, 0x3bf1, v5, v135
	v_add_f16_e32 v34, v60, v58
	v_fma_f16 v58, v9, 0xb9fd, -v68
	v_mul_f16_e64 v139, 0xbbc4, v78
	v_fma_f16 v60, v8, 0x2fb7, -v117
	v_add_f16_e64 v123, v137, v123
	v_add_f16_e64 v137, v62, v138
	v_add_f16_e32 v34, v58, v34
	v_fma_f16 v58, v10, 0x388b, -v104
	v_fma_f16 v138, 0x33a8, v4, v139
	v_mul_f16_e64 v140, 0xb5ac, v92
	v_mul_f16_e64 v142, 0x3b15, v90
	v_fma_f16 v61, v3, 0xb5ac, -v127
	v_add_f16_e32 v31, v58, v34
	v_fma_f16 v34, v11, 0xb5ac, -v107
	v_fma_f16 v58, v3, 0xb9fd, -v113
	v_add_f16_e64 v137, v138, v137
	v_fma_f16 v138, 0xbb7b, v6, v140
	v_mul_f16_e64 v146, 0x388b, v96
	v_add_f16_e32 v31, v34, v31
	v_fma_f16 v34, v14, 0x2fb7, -v112
	v_add_f16_e32 v58, v13, v58
	v_add_f16_e64 v137, v138, v137
	v_fma_f16 v138, 0xb770, v7, v142
	v_add_f16_e32 v61, v13, v61
	v_add_f16_e32 v31, v34, v31
	;; [unrolled: 1-line block ×3, first 2 shown]
	v_fma_f16 v58, v9, 0x388b, -v120
	v_fma_f16 v64, v8, 0xb9fd, -v131
	v_add_f16_e64 v137, v138, v137
	v_fma_f16 v138, 0x3a95, v0, v146
	v_mul_f16_e64 v149, 0xb9fd, v101
	v_add_f16_e32 v34, v58, v34
	v_fma_f16 v58, v10, 0xbbc4, -v119
	v_add_f16_e32 v61, v64, v61
	v_fma_f16 v64, v9, 0x3b15, -v134
	v_add_f16_e64 v137, v138, v137
	v_mul_f16_e64 v138, 0x388b, v76
	v_add_f16_e32 v34, v58, v34
	v_fma_f16 v58, v11, 0x3b15, -v116
	v_mul_f16_e64 v152, 0xb5ac, v78
	v_fma_f16 v153, 0x394e, v1, v149
	v_fma_f16 v151, 0x3a95, v5, v138
	v_mul_f16_e64 v155, 0xbbc4, v92
	v_add_f16_e32 v34, v58, v34
	v_fma_f16 v58, v14, 0xb5ac, -v115
	v_fma_f16 v154, 0x3b7b, v4, v152
	v_add_f16_e64 v151, v62, v151
	v_fma_f16 v66, v11, 0xbbc4, -v136
	v_fma_f16 v68, v8, 0xbbc4, -v145
	v_add_f16_e32 v34, v58, v34
	v_add_f16_e32 v58, v64, v61
	v_fma_f16 v61, v10, 0x2fb7, -v133
	v_add_f16_e64 v137, v153, v137
	v_add_f16_e64 v151, v154, v151
	v_fma_f16 v153, 0x33a8, v6, v155
	v_mul_f16_e64 v154, 0xb9fd, v90
	v_add_f16_e32 v58, v61, v58
	v_fma_f16 v61, v3, 0x2fb7, -v141
	v_fma_f16 v157, 0x388b, v3, v144
	v_mul_f16_e64 v158, 0xbb7b, v100
	v_fmac_f16_e64 v138, 0xba95, v5
	v_add_f16_e32 v58, v66, v58
	v_add_f16_e32 v61, v13, v61
	v_fma_f16 v66, v9, 0xb5ac, -v148
	v_add_f16_e64 v151, v153, v151
	v_fma_f16 v153, 0xb94e, v7, v154
	v_mul_f16_e64 v159, 0x2fb7, v96
	v_add_f16_e32 v61, v68, v61
	v_add_f16_e64 v157, v13, v157
	v_fma_f16 v160, 0xb5ac, v8, v158
	v_add_f16_e64 v69, v62, v138
	v_fmac_f16_e64 v152, 0xbb7b, v4
	v_add_f16_e32 v61, v66, v61
	v_fma_f16 v66, v10, 0x3b15, -v147
	v_add_f16_e64 v151, v153, v151
	v_fma_f16 v153, 0xbbf1, v0, v159
	v_add_f16_e64 v157, v160, v157
	v_fma_f16 v160, 0xbbc4, v9, v161
	v_mul_f16_e64 v163, 0x394e, v103
	v_mul_f16_e32 v76, 0x3b15, v76
	v_mul_f16_e64 v156, 0xb94e, v111
	v_fma_f16 v68, v14, 0x388b, -v130
	v_add_f16_e64 v69, v152, v69
	v_fmac_f16_e64 v155, 0xb3a8, v6
	v_add_f16_e32 v61, v66, v61
	v_fma_f16 v66, v11, 0x388b, -v150
	v_add_f16_e64 v151, v153, v151
	v_add_f16_e64 v153, v160, v157
	v_fma_f16 v157, 0xb9fd, v10, v163
	v_mul_f16_e64 v160, 0x3bf1, v106
	v_fma_f16 v164, 0x3770, v5, v76
	v_mul_f16_e32 v78, 0x388b, v78
	v_add_f16_e32 v58, v68, v58
	v_add_f16_e64 v68, v155, v69
	v_add_f16_e32 v61, v66, v61
	v_fma_f16 v66, v14, 0xb9fd, -v156
	v_fma_f16 v69, v3, 0x388b, -v144
	v_add_f16_e64 v153, v157, v153
	v_fma_f16 v157, 0x2fb7, v11, v160
	v_mul_f16_e64 v165, 0x3770, v111
	v_add_f16_e64 v164, v62, v164
	v_fma_f16 v166, 0x3a95, v4, v78
	v_mul_f16_e32 v92, 0x2fb7, v92
	v_fmac_f16_e32 v122, 0xbb7b, v5
	v_fmac_f16_e64 v135, 0xbbf1, v5
	v_add_f16_e32 v61, v66, v61
	v_add_f16_e32 v66, v13, v69
	v_fma_f16 v69, v8, 0xb5ac, -v158
	v_fmac_f16_e32 v76, 0xb770, v5
	v_fma_f16 v3, v3, 0x3b15, -v33
	v_add_f16_e64 v153, v157, v153
	v_fma_f16 v157, 0x3b15, v14, v165
	v_add_f16_e64 v164, v166, v164
	v_fma_f16 v166, 0x3bf1, v6, v92
	v_mul_f16_e32 v90, 0xb5ac, v90
	v_add_f16_e32 v60, v62, v122
	v_fmac_f16_e32 v125, 0x394e, v4
	v_add_f16_e64 v64, v62, v135
	v_fmac_f16_e64 v139, 0xb3a8, v4
	v_add_f16_e32 v5, v69, v66
	v_fma_f16 v33, v9, 0xbbc4, -v161
	v_add_f16_e32 v62, v62, v76
	v_fmac_f16_e32 v78, 0xba95, v4
	v_add_f16_e32 v3, v13, v3
	v_fma_f16 v4, v8, 0x388b, -v73
	v_add_f16_e64 v153, v157, v153
	v_add_f16_e64 v157, v166, v164
	v_fma_f16 v164, 0x3b7b, v7, v90
	v_mul_f16_e32 v96, 0xb9fd, v96
	v_fma_f16 v162, 0xb9fd, v14, v156
	v_fmac_f16_e32 v109, 0xba95, v6
	v_add_f16_e32 v60, v125, v60
	v_fmac_f16_e32 v126, 0x3770, v6
	v_add_f16_e64 v64, v139, v64
	v_fmac_f16_e64 v140, 0x3b7b, v6
	v_add_f16_e32 v5, v33, v5
	v_fma_f16 v8, v10, 0xb9fd, -v163
	v_add_f16_e32 v13, v78, v62
	v_fmac_f16_e32 v92, 0xbbf1, v6
	v_add_f16_e32 v3, v4, v3
	v_fma_f16 v4, v9, 0x2fb7, -v67
	v_add_f16_e64 v75, v164, v157
	v_fma_f16 v157, 0x394e, v0, v96
	v_mul_f16_e32 v59, 0xbbc4, v101
	v_add_f16_e64 v143, v162, v143
	v_mul_f16_e64 v162, 0x3b15, v101
	v_add_f16_e32 v30, v109, v30
	v_fmac_f16_e32 v114, 0x33a8, v7
	v_add_f16_e32 v60, v126, v60
	v_fmac_f16_e64 v128, 0xbbf1, v7
	v_add_f16_e64 v64, v140, v64
	v_fmac_f16_e64 v142, 0x3770, v7
	v_fmac_f16_e64 v154, 0x394e, v7
	v_add_f16_e32 v5, v8, v5
	v_fma_f16 v6, v11, 0x2fb7, -v160
	v_add_f16_e32 v8, v92, v13
	v_fmac_f16_e32 v90, 0xbb7b, v7
	v_add_f16_e32 v3, v4, v3
	v_fma_f16 v4, v10, 0xb5ac, -v63
	v_add_f16_e64 v75, v157, v75
	v_fmamk_f16 v71, v1, 0x33a8, v59
	v_fma_f16 v167, 0xb770, v1, v162
	v_add_f16_e32 v30, v114, v30
	v_fmac_f16_e32 v118, 0x3770, v0
	v_add_f16_e64 v60, v128, v60
	v_fmac_f16_e64 v132, 0x33a8, v0
	v_add_f16_e64 v64, v142, v64
	v_fmac_f16_e64 v146, 0xba95, v0
	;; [unrolled: 2-line block ×3, first 2 shown]
	v_add_f16_e32 v5, v6, v5
	v_add_f16_e32 v6, v90, v8
	v_fmac_f16_e32 v96, 0xb94e, v0
	v_add_f16_e32 v0, v4, v3
	v_fma_f16 v3, v11, 0xb9fd, -v70
	v_add_f16_e32 v71, v71, v75
	v_fmac_f16_e32 v105, 0x3bf1, v1
	v_mul_u32_u24_e32 v8, 0x75, v56
	v_add_f16_e64 v151, v167, v151
	v_add_f16_e32 v30, v118, v30
	v_fmac_f16_e32 v121, 0xbb7b, v1
	v_add_f16_e64 v60, v132, v60
	v_fmac_f16_e32 v124, 0x3a95, v1
	v_add_f16_e64 v64, v146, v64
	v_fmac_f16_e64 v149, 0xb94e, v1
	v_add_f16_e64 v68, v159, v68
	v_fmac_f16_e64 v162, 0x3770, v1
	v_fma_f16 v4, v14, 0x3b15, -v165
	v_add_f16_e32 v6, v96, v6
	v_fmac_f16_e32 v59, 0xb3a8, v1
	v_add_f16_e32 v0, v3, v0
	v_fma_f16 v1, v14, 0xbbc4, -v65
	v_add_f16_e32 v29, v105, v29
	v_add_lshl_u32 v3, v8, v55, 2
	v_pack_b32_f16 v8, v57, v18
	v_pack_b32_f16 v9, v32, v71
	v_add_f16_e32 v30, v121, v30
	v_add_f16_e32 v60, v124, v60
	v_pack_b32_f16 v10, v153, v151
	v_pack_b32_f16 v11, v143, v137
	v_add_f16_e64 v64, v149, v64
	v_add_f16_e64 v7, v162, v68
	v_add_f16_e32 v4, v4, v5
	v_add_f16_e32 v5, v59, v6
	;; [unrolled: 1-line block ×3, first 2 shown]
	v_pack_b32_f16 v1, v129, v123
	v_pack_b32_f16 v6, v17, v16
	ds_store_2addr_b32 v3, v8, v9 offset1:9
	ds_store_2addr_b32 v3, v10, v11 offset0:18 offset1:27
	v_pack_b32_f16 v2, v15, v2
	v_pack_b32_f16 v8, v31, v29
	;; [unrolled: 1-line block ×7, first 2 shown]
	ds_store_2addr_b32 v3, v1, v6 offset0:36 offset1:45
	ds_store_2addr_b32 v3, v2, v8 offset0:54 offset1:63
	;; [unrolled: 1-line block ×4, first 2 shown]
	ds_store_b32 v3, v0 offset:432
.LBB0_9:
	s_wait_alu 0xfffe
	s_or_b32 exec_lo, exec_lo, s0
	v_add_nc_u32_e32 v10, 0x200, v35
	v_add_nc_u32_e32 v2, 0xa00, v35
	;; [unrolled: 1-line block ×3, first 2 shown]
	global_wb scope:SCOPE_SE
	s_wait_dscnt 0x0
	s_barrier_signal -1
	s_barrier_wait -1
	global_inv scope:SCOPE_SE
	ds_load_2addr_b32 v[0:1], v35 offset1:117
	ds_load_b32 v11, v35 offset:3744
	ds_load_2addr_b32 v[4:5], v10 offset0:106 offset1:223
	ds_load_2addr_b32 v[6:7], v2 offset0:62 offset1:179
	;; [unrolled: 1-line block ×3, first 2 shown]
	global_wb scope:SCOPE_SE
	s_wait_dscnt 0x0
	s_barrier_signal -1
	s_barrier_wait -1
	global_inv scope:SCOPE_SE
	s_mov_b32 s8, 0xad57473c
	s_mov_b32 s9, 0x3f4f1e63
	v_lshrrev_b32_e32 v15, 16, v11
	v_lshrrev_b32_e32 v16, 16, v5
	v_lshrrev_b32_e32 v17, 16, v6
	v_lshrrev_b32_e32 v18, 16, v8
	v_mul_f16_e32 v32, v80, v5
	v_mul_f16_e32 v33, v81, v6
	v_lshrrev_b32_e32 v29, 16, v7
	v_lshrrev_b32_e32 v31, 16, v9
	v_mul_f16_e32 v34, v80, v8
	v_mul_f16_e32 v56, v80, v16
	v_fma_f16 v16, v19, v16, -v32
	v_mul_f16_e32 v32, v81, v17
	v_fma_f16 v17, v20, v17, -v33
	;; [unrolled: 2-line block ×3, first 2 shown]
	v_mul_f16_e32 v34, v81, v29
	v_mul_f16_e32 v57, v89, v31
	v_fmac_f16_e32 v56, v19, v5
	v_fmac_f16_e32 v32, v20, v6
	;; [unrolled: 1-line block ×3, first 2 shown]
	v_mul_f16_e32 v8, v87, v11
	v_lshrrev_b32_e32 v13, 16, v0
	v_mul_f16_e32 v55, v81, v7
	v_fmac_f16_e32 v34, v20, v7
	v_mul_f16_e32 v5, v89, v9
	v_mul_f16_e32 v7, v87, v15
	v_fmac_f16_e32 v57, v21, v9
	v_add_f16_e32 v9, v56, v32
	v_fma_f16 v8, v22, v15, -v8
	v_add_f16_e32 v15, v16, v17
	v_fma_f16 v6, v20, v29, -v55
	v_fmac_f16_e32 v7, v22, v11
	v_add_f16_e32 v11, v0, v56
	v_fma_f16 v0, -0.5, v9, v0
	v_sub_f16_e32 v9, v16, v17
	v_add_f16_e32 v16, v13, v16
	v_fmac_f16_e32 v13, -0.5, v15
	v_sub_f16_e32 v15, v56, v32
	v_lshrrev_b32_e32 v14, 16, v1
	v_fmamk_f16 v19, v9, 0xbaee, v0
	v_fmac_f16_e32 v0, 0x3aee, v9
	v_add_f16_e32 v9, v16, v17
	v_add_f16_e32 v16, v33, v34
	v_fmamk_f16 v17, v15, 0x3aee, v13
	v_fmac_f16_e32 v13, 0xbaee, v15
	v_add_f16_e32 v15, v18, v6
	v_fma_f16 v5, v21, v31, -v5
	v_add_f16_e32 v20, v1, v33
	v_fmac_f16_e32 v1, -0.5, v16
	v_sub_f16_e32 v16, v18, v6
	v_add_f16_e32 v18, v14, v18
	v_fmac_f16_e32 v14, -0.5, v15
	v_sub_f16_e32 v15, v33, v34
	v_lshrrev_b32_e32 v30, 16, v4
	v_fmamk_f16 v21, v16, 0xbaee, v1
	v_fmac_f16_e32 v1, 0x3aee, v16
	v_add_f16_e32 v6, v18, v6
	v_add_f16_e32 v16, v57, v7
	v_fmamk_f16 v18, v15, 0x3aee, v14
	v_fmac_f16_e32 v14, 0xbaee, v15
	v_add_f16_e32 v15, v5, v8
	v_add_f16_e32 v22, v4, v57
	v_fmac_f16_e32 v4, -0.5, v16
	v_sub_f16_e32 v16, v5, v8
	v_add_f16_e32 v5, v30, v5
	v_fmac_f16_e32 v30, -0.5, v15
	v_sub_f16_e32 v15, v57, v7
	v_add_f16_e32 v11, v11, v32
	v_add_f16_e32 v20, v20, v34
	;; [unrolled: 1-line block ×3, first 2 shown]
	v_fmamk_f16 v22, v16, 0xbaee, v4
	v_add_f16_e32 v5, v5, v8
	v_fmamk_f16 v8, v15, 0x3aee, v30
	v_fmac_f16_e32 v4, 0x3aee, v16
	v_fmac_f16_e32 v30, 0xbaee, v15
	v_pack_b32_f16 v9, v11, v9
	v_pack_b32_f16 v11, v19, v17
	;; [unrolled: 1-line block ×8, first 2 shown]
	v_add_nc_u32_e32 v8, 0xa00, v79
	v_pack_b32_f16 v4, v4, v30
	ds_store_2addr_b32 v35, v9, v11 offset1:117
	ds_store_2addr_b32 v10, v0, v6 offset0:106 offset1:223
	ds_store_2addr_b32 v3, v13, v1 offset0:84 offset1:201
	;; [unrolled: 1-line block ×3, first 2 shown]
	ds_store_b32 v79, v4 offset:3744
	global_wb scope:SCOPE_SE
	s_wait_dscnt 0x0
	s_barrier_signal -1
	s_barrier_wait -1
	global_inv scope:SCOPE_SE
	ds_load_2addr_b32 v[0:1], v35 offset1:117
	ds_load_2addr_b32 v[4:5], v10 offset0:106 offset1:223
	ds_load_2addr_b32 v[6:7], v2 offset0:62 offset1:179
	;; [unrolled: 1-line block ×3, first 2 shown]
	ds_load_b32 v11, v35 offset:3744
	s_wait_dscnt 0x4
	v_lshrrev_b32_e32 v13, 16, v0
	s_wait_dscnt 0x3
	v_lshrrev_b32_e32 v14, 16, v5
	;; [unrolled: 2-line block ×4, first 2 shown]
	v_lshrrev_b32_e32 v18, 16, v7
	v_mul_f16_e32 v22, v88, v5
	v_mul_f16_e32 v20, v88, v14
	;; [unrolled: 1-line block ×3, first 2 shown]
	v_lshrrev_b32_e32 v21, 16, v9
	s_wait_dscnt 0x0
	v_lshrrev_b32_e32 v29, 16, v11
	v_fma_f16 v14, v27, v14, -v22
	v_fmac_f16_e32 v20, v27, v5
	v_mul_f16_e32 v5, v86, v6
	v_mul_f16_e32 v22, v85, v17
	v_fmac_f16_e32 v30, v28, v6
	v_mul_f16_e32 v6, v85, v8
	v_lshrrev_b32_e32 v16, 16, v1
	v_fma_f16 v5, v28, v15, -v5
	v_mul_f16_e32 v15, v84, v18
	v_fmac_f16_e32 v22, v25, v8
	v_mul_f16_e32 v8, v84, v7
	v_fma_f16 v6, v25, v17, -v6
	v_mul_f16_e32 v17, v83, v21
	v_fmac_f16_e32 v15, v26, v7
	v_mul_f16_e32 v7, v83, v9
	;; [unrolled: 4-line block ×3, first 2 shown]
	v_fma_f16 v7, v23, v21, -v7
	v_add_f16_e32 v21, v20, v30
	v_add_f16_e32 v23, v14, v5
	v_fmac_f16_e32 v18, v24, v11
	v_add_f16_e32 v11, v0, v20
	v_sub_f16_e32 v20, v20, v30
	v_fma_f16 v0, -0.5, v21, v0
	v_sub_f16_e32 v21, v14, v5
	v_add_f16_e32 v14, v13, v14
	v_fmac_f16_e32 v13, -0.5, v23
	v_fma_f16 v9, v24, v29, -v9
	v_add_f16_e32 v24, v1, v22
	v_fmamk_f16 v23, v21, 0xbaee, v0
	v_add_f16_e32 v5, v14, v5
	v_add_f16_e32 v14, v22, v15
	v_fmac_f16_e32 v0, 0x3aee, v21
	v_fmamk_f16 v21, v20, 0x3aee, v13
	v_fmac_f16_e32 v13, 0xbaee, v20
	v_add_f16_e32 v20, v6, v8
	v_fmac_f16_e32 v1, -0.5, v14
	v_sub_f16_e32 v14, v6, v8
	v_add_f16_e32 v6, v16, v6
	v_add_f16_e32 v24, v24, v15
	v_fmac_f16_e32 v16, -0.5, v20
	v_sub_f16_e32 v15, v22, v15
	v_lshrrev_b32_e32 v19, 16, v4
	v_add_f16_e32 v6, v6, v8
	v_add_f16_e32 v8, v17, v18
	v_fmamk_f16 v20, v14, 0xbaee, v1
	v_fmac_f16_e32 v1, 0x3aee, v14
	v_fmamk_f16 v14, v15, 0x3aee, v16
	v_fmac_f16_e32 v16, 0xbaee, v15
	v_add_f16_e32 v15, v7, v9
	v_add_f16_e32 v22, v4, v17
	v_fmac_f16_e32 v4, -0.5, v8
	v_sub_f16_e32 v8, v7, v9
	v_add_f16_e32 v7, v19, v7
	v_fmac_f16_e32 v19, -0.5, v15
	v_sub_f16_e32 v15, v17, v18
	v_add_f16_e32 v11, v11, v30
	v_add_f16_e32 v17, v22, v18
	;; [unrolled: 1-line block ×3, first 2 shown]
	v_fmamk_f16 v18, v8, 0xbaee, v4
	v_fmac_f16_e32 v4, 0x3aee, v8
	v_fmamk_f16 v8, v15, 0x3aee, v19
	v_fmac_f16_e32 v19, 0xbaee, v15
	v_pack_b32_f16 v9, v23, v21
	v_pack_b32_f16 v0, v0, v13
	;; [unrolled: 1-line block ×9, first 2 shown]
	v_add_nc_u32_e32 v13, 0xc00, v35
	ds_store_b32 v35, v9 offset:1404
	ds_store_b32 v35, v0 offset:2808
	ds_store_2addr_b32 v35, v5, v6 offset1:117
	ds_store_b32 v35, v7 offset:936
	ds_store_2addr_b32 v3, v11, v8 offset0:84 offset1:201
	ds_store_2addr_b32 v13, v1, v4 offset0:51 offset1:168
	global_wb scope:SCOPE_SE
	s_wait_dscnt 0x0
	s_barrier_signal -1
	s_barrier_wait -1
	global_inv scope:SCOPE_SE
	ds_load_2addr_b32 v[4:5], v35 offset1:117
	s_wait_dscnt 0x0
	v_lshrrev_b32_e32 v6, 16, v4
	s_delay_alu instid0(VALU_DEP_1) | instskip(NEXT) | instid1(VALU_DEP_1)
	v_mul_f16_e32 v0, v54, v6
	v_fmac_f16_e32 v0, v51, v4
	v_mul_f16_e32 v4, v54, v4
	s_delay_alu instid0(VALU_DEP_2) | instskip(NEXT) | instid1(VALU_DEP_2)
	v_cvt_f32_f16_e32 v0, v0
	v_fma_f16 v4, v51, v6, -v4
	s_delay_alu instid0(VALU_DEP_2) | instskip(NEXT) | instid1(VALU_DEP_2)
	v_cvt_f64_f32_e32 v[0:1], v0
	v_cvt_f32_f16_e32 v4, v4
	s_delay_alu instid0(VALU_DEP_1) | instskip(SKIP_1) | instid1(VALU_DEP_3)
	v_cvt_f64_f32_e32 v[6:7], v4
	s_wait_alu 0xfffe
	v_mul_f64_e32 v[8:9], s[8:9], v[0:1]
	ds_load_2addr_b32 v[0:1], v10 offset0:106 offset1:223
	v_mul_f64_e32 v[6:7], s[8:9], v[6:7]
	s_wait_dscnt 0x0
	v_lshrrev_b32_e32 v4, 16, v1
	v_mul_f16_e32 v17, v53, v1
	s_delay_alu instid0(VALU_DEP_2) | instskip(NEXT) | instid1(VALU_DEP_2)
	v_mul_f16_e32 v10, v53, v4
	v_fma_f16 v17, v50, v4, -v17
	s_delay_alu instid0(VALU_DEP_2) | instskip(NEXT) | instid1(VALU_DEP_1)
	v_fmac_f16_e32 v10, v50, v1
	v_cvt_f32_f16_e32 v10, v10
	v_and_or_b32 v8, 0x1ff, v9, v8
	v_lshrrev_b32_e32 v13, 8, v9
	v_bfe_u32 v15, v9, 20, 11
	s_delay_alu instid0(VALU_DEP_4) | instskip(NEXT) | instid1(VALU_DEP_4)
	v_cvt_f64_f32_e32 v[10:11], v10
	v_cmp_ne_u32_e32 vcc_lo, 0, v8
	v_and_or_b32 v6, 0x1ff, v7, v6
	s_delay_alu instid0(VALU_DEP_4)
	v_sub_nc_u32_e32 v16, 0x3f1, v15
	v_lshrrev_b32_e32 v19, 8, v7
	v_bfe_u32 v21, v7, 20, 11
	s_wait_alu 0xfffd
	v_cndmask_b32_e64 v8, 0, 1, vcc_lo
	v_cmp_ne_u32_e32 vcc_lo, 0, v6
	v_med3_i32 v16, v16, 0, 13
	s_delay_alu instid0(VALU_DEP_3) | instskip(SKIP_3) | instid1(VALU_DEP_3)
	v_and_or_b32 v8, 0xffe, v13, v8
	v_mad_co_u64_u32 v[13:14], null, s6, v12, 0
	s_wait_alu 0xfffd
	v_cndmask_b32_e64 v6, 0, 1, vcc_lo
	v_or_b32_e32 v18, 0x1000, v8
	v_cmp_ne_u32_e64 s1, 0, v8
	s_delay_alu instid0(VALU_DEP_3) | instskip(SKIP_1) | instid1(VALU_DEP_4)
	v_and_or_b32 v6, 0xffe, v19, v6
	v_mov_b32_e32 v4, v14
	v_lshrrev_b32_e32 v20, v16, v18
	v_add_nc_u32_e32 v19, 0xfffffc10, v15
	s_delay_alu instid0(VALU_DEP_4) | instskip(NEXT) | instid1(VALU_DEP_3)
	v_or_b32_e32 v22, 0x1000, v6
	v_lshlrev_b32_e32 v14, v16, v20
	v_cvt_f32_f16_e32 v16, v17
	v_sub_nc_u32_e32 v17, 0x3f1, v21
	v_add_nc_u32_e32 v21, 0xfffffc10, v21
	s_delay_alu instid0(VALU_DEP_4) | instskip(NEXT) | instid1(VALU_DEP_4)
	v_cmp_ne_u32_e32 vcc_lo, v14, v18
	v_cvt_f64_f32_e32 v[14:15], v16
	s_delay_alu instid0(VALU_DEP_4)
	v_med3_i32 v17, v17, 0, 13
	v_lshl_or_b32 v16, v19, 12, v8
	s_wait_alu 0xf1ff
	v_cndmask_b32_e64 v8, 0, 1, s1
	s_wait_alu 0xfffd
	v_cndmask_b32_e64 v18, 0, 1, vcc_lo
	v_cmp_gt_i32_e32 vcc_lo, 1, v19
	v_mul_f64_e32 v[10:11], s[8:9], v[10:11]
	v_lshl_or_b32 v8, v8, 9, 0x7c00
	s_delay_alu instid0(VALU_DEP_4) | instskip(SKIP_2) | instid1(VALU_DEP_2)
	v_or_b32_e32 v18, v20, v18
	v_lshrrev_b32_e32 v20, v17, v22
	s_wait_alu 0xfffd
	v_cndmask_b32_e32 v18, v16, v18, vcc_lo
	s_delay_alu instid0(VALU_DEP_2) | instskip(SKIP_2) | instid1(VALU_DEP_4)
	v_lshlrev_b32_e32 v24, v17, v20
	v_mad_co_u64_u32 v[16:17], null, s7, v12, v[4:5]
	v_lshl_or_b32 v17, v21, 12, v6
	v_and_b32_e32 v4, 7, v18
	s_delay_alu instid0(VALU_DEP_4) | instskip(SKIP_2) | instid1(VALU_DEP_3)
	v_cmp_ne_u32_e32 vcc_lo, v24, v22
	v_lshrrev_b32_e32 v24, 16, v5
	s_mul_u64 s[6:7], s[4:5], 0x57c
	v_cmp_eq_u32_e64 s0, 3, v4
	s_wait_alu 0xfffd
	v_cndmask_b32_e64 v22, 0, 1, vcc_lo
	v_cmp_lt_i32_e32 vcc_lo, 5, v4
	v_lshrrev_b32_e32 v4, 2, v18
	s_delay_alu instid0(VALU_DEP_3)
	v_or_b32_e32 v18, v20, v22
	s_or_b32 vcc_lo, s0, vcc_lo
	v_lshrrev_b32_e32 v20, 16, v9
	s_wait_alu 0xfffe
	v_add_co_ci_u32_e32 v4, vcc_lo, 0, v4, vcc_lo
	v_cmp_gt_i32_e32 vcc_lo, 1, v21
	s_wait_alu 0xfffd
	v_cndmask_b32_e32 v17, v17, v18, vcc_lo
	v_cmp_gt_i32_e32 vcc_lo, 31, v19
	v_and_or_b32 v10, 0x1ff, v11, v10
	s_delay_alu instid0(VALU_DEP_3)
	v_and_b32_e32 v18, 7, v17
	s_wait_alu 0xfffd
	v_cndmask_b32_e32 v4, 0x7c00, v4, vcc_lo
	v_cmp_eq_u32_e32 vcc_lo, 0x40f, v19
	v_bfe_u32 v22, v11, 20, 11
	v_cmp_eq_u32_e64 s0, 3, v18
	s_wait_alu 0xfffd
	v_cndmask_b32_e32 v4, v4, v8, vcc_lo
	v_cmp_lt_i32_e32 vcc_lo, 5, v18
	v_mul_f64_e32 v[8:9], s[8:9], v[14:15]
	v_lshrrev_b32_e32 v14, 2, v17
	s_delay_alu instid0(VALU_DEP_4)
	v_and_or_b32 v15, 0x8000, v20, v4
	s_or_b32 vcc_lo, s0, vcc_lo
	v_mad_co_u64_u32 v[19:20], null, s4, v47, 0
	s_wait_alu 0xfffe
	v_add_co_ci_u32_e32 v4, vcc_lo, 0, v14, vcc_lo
	v_cmp_ne_u32_e32 vcc_lo, 0, v6
	v_dual_mov_b32 v14, v16 :: v_dual_and_b32 v15, 0xffff, v15
	s_wait_alu 0xfffd
	v_cndmask_b32_e64 v6, 0, 1, vcc_lo
	v_cmp_gt_i32_e32 vcc_lo, 31, v21
	s_delay_alu instid0(VALU_DEP_2)
	v_lshl_or_b32 v6, v6, 9, 0x7c00
	s_wait_alu 0xfffd
	v_cndmask_b32_e32 v4, 0x7c00, v4, vcc_lo
	v_cmp_ne_u32_e32 vcc_lo, 0, v10
	s_wait_alu 0xfffd
	v_cndmask_b32_e64 v10, 0, 1, vcc_lo
	v_cmp_eq_u32_e32 vcc_lo, 0x40f, v21
	s_wait_alu 0xfffd
	v_cndmask_b32_e32 v21, v4, v6, vcc_lo
	ds_load_2addr_b32 v[1:2], v2 offset0:62 offset1:179
	v_mov_b32_e32 v4, v20
	v_lshrrev_b32_e32 v20, 16, v7
	v_and_or_b32 v8, 0x1ff, v9, v8
	s_delay_alu instid0(VALU_DEP_3) | instskip(SKIP_2) | instid1(VALU_DEP_1)
	v_mad_co_u64_u32 v[6:7], null, s5, v47, v[4:5]
	s_wait_dscnt 0x0
	v_lshrrev_b32_e32 v23, 16, v1
	v_mul_f16_e32 v12, v52, v23
	s_delay_alu instid0(VALU_DEP_1) | instskip(SKIP_1) | instid1(VALU_DEP_2)
	v_fmac_f16_e32 v12, v48, v1
	v_mul_f16_e32 v1, v52, v1
	v_cvt_f32_f16_e32 v12, v12
	s_delay_alu instid0(VALU_DEP_2) | instskip(NEXT) | instid1(VALU_DEP_2)
	v_fma_f16 v1, v48, v23, -v1
	v_cvt_f64_f32_e32 v[17:18], v12
	v_lshrrev_b32_e32 v12, 8, v11
	s_delay_alu instid0(VALU_DEP_3) | instskip(NEXT) | instid1(VALU_DEP_2)
	v_cvt_f32_f16_e32 v1, v1
	v_and_or_b32 v10, 0xffe, v12, v10
	v_sub_nc_u32_e32 v12, 0x3f1, v22
	s_delay_alu instid0(VALU_DEP_2) | instskip(NEXT) | instid1(VALU_DEP_2)
	v_or_b32_e32 v4, 0x1000, v10
	v_med3_i32 v7, v12, 0, 13
	v_and_or_b32 v12, 0x8000, v20, v21
	s_delay_alu instid0(VALU_DEP_2) | instskip(SKIP_1) | instid1(VALU_DEP_3)
	v_lshrrev_b32_e32 v16, v7, v4
	v_mov_b32_e32 v20, v6
	v_lshl_or_b32 v21, v12, 16, v15
	s_delay_alu instid0(VALU_DEP_3) | instskip(SKIP_1) | instid1(VALU_DEP_2)
	v_lshlrev_b32_e32 v15, v7, v16
	v_lshlrev_b64_e32 v[6:7], 2, v[13:14]
	v_cmp_ne_u32_e32 vcc_lo, v15, v4
	v_cvt_f64_f32_e32 v[14:15], v1
	s_wait_alu 0xfffd
	v_cndmask_b32_e64 v4, 0, 1, vcc_lo
	v_cmp_ne_u32_e32 vcc_lo, 0, v8
	s_delay_alu instid0(VALU_DEP_2)
	v_or_b32_e32 v4, v16, v4
	v_mul_f64_e32 v[12:13], s[8:9], v[17:18]
	v_add_nc_u32_e32 v18, 0xfffffc10, v22
	s_wait_alu 0xfffd
	v_cndmask_b32_e64 v8, 0, 1, vcc_lo
	v_lshrrev_b32_e32 v17, 8, v9
	v_bfe_u32 v22, v9, 20, 11
	v_lshrrev_b32_e32 v9, 16, v9
	v_lshl_or_b32 v1, v18, 12, v10
	v_cmp_gt_i32_e32 vcc_lo, 1, v18
	v_and_or_b32 v8, 0xffe, v17, v8
	v_sub_nc_u32_e32 v23, 0x3f1, v22
	v_lshlrev_b64_e32 v[16:17], 2, v[19:20]
	s_wait_alu 0xfffd
	v_cndmask_b32_e32 v1, v1, v4, vcc_lo
	v_or_b32_e32 v4, 0x1000, v8
	v_med3_i32 v19, v23, 0, 13
	v_add_co_u32 v6, vcc_lo, s2, v6
	s_wait_alu 0xfffd
	v_add_co_ci_u32_e32 v7, vcc_lo, s3, v7, vcc_lo
	s_delay_alu instid0(VALU_DEP_3)
	v_lshrrev_b32_e32 v23, v19, v4
	v_and_b32_e32 v20, 7, v1
	v_add_co_u32 v6, vcc_lo, v6, v16
	s_wait_alu 0xfffd
	v_add_co_ci_u32_e32 v7, vcc_lo, v7, v17, vcc_lo
	v_lshlrev_b32_e32 v16, v19, v23
	v_cmp_lt_i32_e32 vcc_lo, 5, v20
	v_cmp_eq_u32_e64 s0, 3, v20
	v_lshrrev_b32_e32 v1, 2, v1
	v_mul_f64_e32 v[14:15], s[8:9], v[14:15]
	v_cmp_ne_u32_e64 s1, v16, v4
	v_mul_f16_e32 v17, v49, v24
	s_or_b32 vcc_lo, s0, vcc_lo
	global_store_b32 v[6:7], v21, off
	s_wait_alu 0xfffe
	v_add_co_ci_u32_e32 v1, vcc_lo, 0, v1, vcc_lo
	v_cndmask_b32_e64 v4, 0, 1, s1
	v_fmac_f16_e32 v17, v45, v5
	v_and_or_b32 v12, 0x1ff, v13, v12
	v_mul_f16_e32 v5, v49, v5
	s_delay_alu instid0(VALU_DEP_4) | instskip(SKIP_1) | instid1(VALU_DEP_4)
	v_or_b32_e32 v4, v23, v4
	v_add_nc_u32_e32 v19, 0xfffffc10, v22
	v_cmp_ne_u32_e32 vcc_lo, 0, v12
	v_lshrrev_b32_e32 v22, 8, v13
	v_bfe_u32 v23, v13, 20, 11
	v_cvt_f32_f16_e32 v16, v17
	v_lshl_or_b32 v20, v19, 12, v8
	s_wait_alu 0xfffd
	v_cndmask_b32_e64 v12, 0, 1, vcc_lo
	v_cmp_ne_u32_e32 vcc_lo, 0, v10
	v_fma_f16 v5, v45, v24, -v5
	v_cvt_f64_f32_e32 v[16:17], v16
	s_delay_alu instid0(VALU_DEP_4)
	v_and_or_b32 v12, 0xffe, v22, v12
	s_wait_alu 0xfffd
	v_cndmask_b32_e64 v10, 0, 1, vcc_lo
	v_cmp_gt_i32_e32 vcc_lo, 1, v19
	v_cvt_f32_f16_e32 v5, v5
	v_or_b32_e32 v25, 0x1000, v12
	s_delay_alu instid0(VALU_DEP_4)
	v_lshl_or_b32 v10, v10, 9, 0x7c00
	s_wait_alu 0xfffd
	v_cndmask_b32_e32 v4, v20, v4, vcc_lo
	v_cmp_gt_i32_e32 vcc_lo, 31, v18
	v_sub_nc_u32_e32 v20, 0x3f1, v23
	s_wait_alu 0xfffd
	s_delay_alu instid0(VALU_DEP_3) | instskip(SKIP_1) | instid1(VALU_DEP_3)
	v_dual_cndmask_b32 v1, 0x7c00, v1 :: v_dual_and_b32 v22, 7, v4
	v_cmp_eq_u32_e32 vcc_lo, 0x40f, v18
	v_med3_i32 v20, v20, 0, 13
	v_lshrrev_b32_e32 v4, 2, v4
	s_delay_alu instid0(VALU_DEP_4)
	v_cmp_eq_u32_e64 s0, 3, v22
	v_and_or_b32 v14, 0x1ff, v15, v14
	s_wait_alu 0xfffd
	v_cndmask_b32_e32 v1, v1, v10, vcc_lo
	v_cmp_lt_i32_e32 vcc_lo, 5, v22
	v_lshrrev_b32_e32 v18, v20, v25
	v_lshrrev_b32_e32 v22, 16, v11
	v_cvt_f64_f32_e32 v[10:11], v5
	v_bfe_u32 v24, v15, 20, 11
	s_or_b32 vcc_lo, s0, vcc_lo
	v_lshlrev_b32_e32 v20, v20, v18
	s_wait_alu 0xfffe
	v_add_co_ci_u32_e32 v4, vcc_lo, 0, v4, vcc_lo
	v_cmp_ne_u32_e32 vcc_lo, 0, v8
	v_and_or_b32 v1, 0x8000, v22, v1
	s_wait_alu 0xfffd
	v_cndmask_b32_e64 v8, 0, 1, vcc_lo
	v_cmp_ne_u32_e32 vcc_lo, v20, v25
	v_add_nc_u32_e32 v20, 0xfffffc10, v23
	v_lshrrev_b32_e32 v23, 8, v15
	v_mul_f64_e32 v[16:17], s[8:9], v[16:17]
	v_lshl_or_b32 v8, v8, 9, 0x7c00
	s_wait_alu 0xfffd
	v_cndmask_b32_e64 v5, 0, 1, vcc_lo
	v_cmp_gt_i32_e32 vcc_lo, 31, v19
	v_and_b32_e32 v1, 0xffff, v1
	s_delay_alu instid0(VALU_DEP_3)
	v_or_b32_e32 v5, v18, v5
	s_wait_alu 0xfffd
	v_cndmask_b32_e32 v4, 0x7c00, v4, vcc_lo
	v_cmp_ne_u32_e32 vcc_lo, 0, v14
	v_lshl_or_b32 v18, v20, 12, v12
	s_wait_alu 0xfffd
	v_cndmask_b32_e64 v14, 0, 1, vcc_lo
	v_cmp_eq_u32_e32 vcc_lo, 0x40f, v19
	s_delay_alu instid0(VALU_DEP_2)
	v_and_or_b32 v14, 0xffe, v23, v14
	s_wait_alu 0xfffd
	v_cndmask_b32_e32 v4, v4, v8, vcc_lo
	v_cmp_gt_i32_e32 vcc_lo, 1, v20
	v_sub_nc_u32_e32 v8, 0x3f1, v24
	v_or_b32_e32 v19, 0x1000, v14
	s_delay_alu instid0(VALU_DEP_4)
	v_and_or_b32 v9, 0x8000, v9, v4
	s_wait_alu 0xfffd
	v_cndmask_b32_e32 v5, v18, v5, vcc_lo
	v_med3_i32 v8, v8, 0, 13
	ds_load_2addr_b32 v[3:4], v3 offset0:84 offset1:201
	v_lshl_or_b32 v21, v9, 16, v1
	v_and_b32_e32 v18, 7, v5
	v_lshrrev_b32_e32 v5, 2, v5
	s_delay_alu instid0(VALU_DEP_2) | instskip(SKIP_3) | instid1(VALU_DEP_3)
	v_cmp_lt_i32_e32 vcc_lo, 5, v18
	v_cmp_eq_u32_e64 s0, 3, v18
	v_lshrrev_b32_e32 v18, v8, v19
	v_bfe_u32 v22, v17, 20, 11
	s_or_b32 vcc_lo, s0, vcc_lo
	s_delay_alu instid0(VALU_DEP_2)
	v_lshlrev_b32_e32 v1, v8, v18
	s_wait_alu 0xfffe
	v_add_co_ci_u32_e32 v5, vcc_lo, 0, v5, vcc_lo
	v_mul_f64_e32 v[8:9], s[8:9], v[10:11]
	v_and_or_b32 v11, 0x1ff, v17, v16
	v_cmp_ne_u32_e32 vcc_lo, v1, v19
	v_add_nc_u32_e32 v19, 0xfffffc10, v24
	s_wait_dscnt 0x0
	v_lshrrev_b32_e32 v16, 16, v3
	s_wait_alu 0xfffd
	v_cndmask_b32_e64 v1, 0, 1, vcc_lo
	v_cmp_gt_i32_e32 vcc_lo, 31, v20
	v_lshl_or_b32 v10, v19, 12, v14
	s_delay_alu instid0(VALU_DEP_3)
	v_or_b32_e32 v1, v18, v1
	s_wait_alu 0xfffd
	v_cndmask_b32_e32 v5, 0x7c00, v5, vcc_lo
	v_cmp_ne_u32_e32 vcc_lo, 0, v12
	v_mul_f16_e32 v18, v46, v16
	s_wait_alu 0xfffd
	v_cndmask_b32_e64 v12, 0, 1, vcc_lo
	v_cmp_gt_i32_e32 vcc_lo, 1, v19
	s_delay_alu instid0(VALU_DEP_3) | instskip(SKIP_1) | instid1(VALU_DEP_4)
	v_fmac_f16_e32 v18, v43, v3
	v_mul_f16_e32 v3, v46, v3
	v_lshl_or_b32 v12, v12, 9, 0x7c00
	s_wait_alu 0xfffd
	v_cndmask_b32_e32 v1, v10, v1, vcc_lo
	v_cmp_ne_u32_e32 vcc_lo, 0, v11
	v_lshrrev_b32_e32 v11, 8, v17
	v_fma_f16 v3, v43, v16, -v3
	v_add_nc_u32_e32 v16, 0xfffffc10, v22
	v_and_b32_e32 v23, 7, v1
	s_wait_alu 0xfffd
	v_cndmask_b32_e64 v10, 0, 1, vcc_lo
	v_cmp_eq_u32_e32 vcc_lo, 0x40f, v20
	v_lshrrev_b32_e32 v1, 2, v1
	v_cvt_f32_f16_e32 v3, v3
	v_cmp_eq_u32_e64 s0, 3, v23
	v_and_or_b32 v24, 0xffe, v11, v10
	v_sub_nc_u32_e32 v10, 0x3f1, v22
	s_wait_alu 0xfffd
	v_cndmask_b32_e32 v20, v5, v12, vcc_lo
	v_cmp_lt_i32_e32 vcc_lo, 5, v23
	v_cvt_f32_f16_e32 v5, v18
	v_or_b32_e32 v12, 0x1000, v24
	v_med3_i32 v18, v10, 0, 13
	v_and_or_b32 v8, 0x1ff, v9, v8
	s_or_b32 vcc_lo, s0, vcc_lo
	v_cvt_f64_f32_e32 v[10:11], v5
	s_wait_alu 0xfffe
	v_add_co_ci_u32_e32 v1, vcc_lo, 0, v1, vcc_lo
	v_lshrrev_b32_e32 v5, v18, v12
	v_cmp_ne_u32_e32 vcc_lo, 0, v14
	v_lshrrev_b32_e32 v23, 16, v13
	v_bfe_u32 v25, v9, 20, 11
	v_lshl_or_b32 v22, v16, 12, v24
	v_lshlrev_b32_e32 v13, v18, v5
	s_wait_alu 0xfffd
	v_cndmask_b32_e64 v14, 0, 1, vcc_lo
	v_cmp_ne_u32_e32 vcc_lo, 0, v8
	v_lshrrev_b32_e32 v18, 8, v9
	s_wait_alu 0xfffd
	v_cndmask_b32_e64 v8, 0, 1, vcc_lo
	v_cmp_ne_u32_e32 vcc_lo, v13, v12
	s_delay_alu instid0(VALU_DEP_2)
	v_and_or_b32 v18, 0xffe, v18, v8
	s_wait_alu 0xfffd
	v_cndmask_b32_e64 v12, 0, 1, vcc_lo
	v_sub_nc_u32_e32 v8, 0x3f1, v25
	v_cmp_gt_i32_e32 vcc_lo, 31, v19
	v_or_b32_e32 v26, 0x1000, v18
	s_delay_alu instid0(VALU_DEP_4) | instskip(NEXT) | instid1(VALU_DEP_4)
	v_or_b32_e32 v5, v5, v12
	v_med3_i32 v8, v8, 0, 13
	s_wait_alu 0xfffd
	v_cndmask_b32_e32 v1, 0x7c00, v1, vcc_lo
	v_cmp_gt_i32_e32 vcc_lo, 1, v16
	v_cvt_f64_f32_e32 v[12:13], v3
	v_lshl_or_b32 v3, v14, 9, 0x7c00
	s_wait_alu 0xfffd
	v_cndmask_b32_e32 v14, v22, v5, vcc_lo
	v_lshrrev_b32_e32 v22, v8, v26
	v_cmp_eq_u32_e32 vcc_lo, 0x40f, v19
	v_mul_f64_e32 v[10:11], s[8:9], v[10:11]
	s_wait_alu 0xfffd
	s_delay_alu instid0(VALU_DEP_3) | instskip(SKIP_3) | instid1(VALU_DEP_4)
	v_dual_cndmask_b32 v1, v1, v3 :: v_dual_lshlrev_b32 v8, v8, v22
	v_lshrrev_b32_e32 v3, 16, v15
	v_and_b32_e32 v15, 7, v14
	v_add_co_u32 v5, vcc_lo, v6, s6
	v_cmp_ne_u32_e64 s0, v8, v26
	s_wait_alu 0xfffd
	v_add_co_ci_u32_e32 v6, vcc_lo, s7, v7, vcc_lo
	v_and_or_b32 v7, 0x8000, v23, v20
	v_and_or_b32 v1, 0x8000, v3, v1
	v_cmp_lt_i32_e32 vcc_lo, 5, v15
	s_wait_alu 0xf1ff
	v_cndmask_b32_e64 v3, 0, 1, s0
	v_cmp_eq_u32_e64 s0, 3, v15
	v_and_b32_e32 v15, 0xffff, v7
	v_lshrrev_b32_e32 v7, 2, v14
	s_delay_alu instid0(VALU_DEP_4) | instskip(NEXT) | instid1(VALU_DEP_4)
	v_or_b32_e32 v3, v22, v3
	s_or_b32 vcc_lo, s0, vcc_lo
	v_lshrrev_b32_e32 v22, 16, v2
	s_wait_alu 0xfffe
	v_add_co_ci_u32_e32 v7, vcc_lo, 0, v7, vcc_lo
	v_cmp_ne_u32_e32 vcc_lo, 0, v24
	v_lshl_or_b32 v15, v1, 16, v15
	v_mul_f16_e32 v1, v44, v22
	s_wait_alu 0xfffd
	v_cndmask_b32_e64 v14, 0, 1, vcc_lo
	s_delay_alu instid0(VALU_DEP_2) | instskip(NEXT) | instid1(VALU_DEP_2)
	v_fmac_f16_e32 v1, v41, v2
	v_lshl_or_b32 v14, v14, 9, 0x7c00
	v_add_nc_u32_e32 v19, 0xfffffc10, v25
	s_delay_alu instid0(VALU_DEP_3) | instskip(SKIP_1) | instid1(VALU_DEP_3)
	v_cvt_f32_f16_e32 v1, v1
	v_and_or_b32 v10, 0x1ff, v11, v10
	v_lshl_or_b32 v8, v19, 12, v18
	v_cmp_gt_i32_e32 vcc_lo, 1, v19
	s_wait_alu 0xfffd
	s_delay_alu instid0(VALU_DEP_2)
	v_cndmask_b32_e32 v3, v8, v3, vcc_lo
	v_cmp_gt_i32_e32 vcc_lo, 31, v16
	s_wait_alu 0xfffd
	v_cndmask_b32_e32 v20, 0x7c00, v7, vcc_lo
	v_mul_f64_e32 v[7:8], s[8:9], v[12:13]
	v_and_b32_e32 v12, 7, v3
	v_cmp_eq_u32_e32 vcc_lo, 0x40f, v16
	v_lshrrev_b32_e32 v3, 2, v3
	v_lshrrev_b32_e32 v16, 16, v17
	;; [unrolled: 1-line block ×3, first 2 shown]
	v_cmp_eq_u32_e64 s0, 3, v12
	s_wait_alu 0xfffd
	v_cndmask_b32_e32 v14, v20, v14, vcc_lo
	v_cmp_lt_i32_e32 vcc_lo, 5, v12
	v_cvt_f64_f32_e32 v[12:13], v1
	v_bfe_u32 v20, v11, 20, 11
	v_mul_f16_e32 v1, v44, v2
	v_and_or_b32 v14, 0x8000, v16, v14
	s_or_b32 vcc_lo, s0, vcc_lo
	s_mul_i32 s0, s5, 0xfffff6dc
	s_wait_alu 0xfffe
	v_add_co_ci_u32_e32 v3, vcc_lo, 0, v3, vcc_lo
	v_cmp_ne_u32_e32 vcc_lo, 0, v10
	v_fma_f16 v1, v41, v22, -v1
	v_and_b32_e32 v14, 0xffff, v14
	s_sub_co_i32 s3, s0, s4
	v_lshrrev_b32_e32 v11, 16, v11
	s_wait_alu 0xfffd
	v_cndmask_b32_e64 v10, 0, 1, vcc_lo
	v_cmp_ne_u32_e32 vcc_lo, 0, v18
	v_cvt_f32_f16_e32 v1, v1
	s_delay_alu instid0(VALU_DEP_3)
	v_and_or_b32 v17, 0xffe, v17, v10
	v_sub_nc_u32_e32 v10, 0x3f1, v20
	s_wait_alu 0xfffd
	v_cndmask_b32_e64 v2, 0, 1, vcc_lo
	v_cmp_gt_i32_e32 vcc_lo, 31, v19
	v_or_b32_e32 v18, 0x1000, v17
	v_med3_i32 v22, v10, 0, 13
	s_delay_alu instid0(VALU_DEP_4)
	v_lshl_or_b32 v2, v2, 9, 0x7c00
	s_wait_alu 0xfffd
	v_cndmask_b32_e32 v3, 0x7c00, v3, vcc_lo
	v_cmp_eq_u32_e32 vcc_lo, 0x40f, v19
	v_lshrrev_b32_e32 v19, 16, v9
	v_lshrrev_b32_e32 v23, v22, v18
	v_and_or_b32 v7, 0x1ff, v8, v7
	s_wait_alu 0xfffd
	v_cndmask_b32_e32 v3, v3, v2, vcc_lo
	v_add_co_u32 v9, vcc_lo, v5, s6
	s_wait_alu 0xfffd
	v_add_co_ci_u32_e32 v10, vcc_lo, s7, v6, vcc_lo
	v_lshlrev_b32_e32 v16, v22, v23
	v_cmp_ne_u32_e32 vcc_lo, 0, v7
	v_cvt_f64_f32_e32 v[1:2], v1
	v_and_or_b32 v3, 0x8000, v19, v3
	v_lshrrev_b32_e32 v19, 8, v8
	v_bfe_u32 v22, v8, 20, 11
	s_wait_alu 0xfffd
	v_cndmask_b32_e64 v7, 0, 1, vcc_lo
	v_cmp_ne_u32_e32 vcc_lo, v16, v18
	v_add_nc_u32_e32 v18, 0xfffffc10, v20
	v_mul_f64_e32 v[12:13], s[8:9], v[12:13]
	v_lshl_or_b32 v3, v3, 16, v14
	v_and_or_b32 v7, 0xffe, v19, v7
	s_wait_alu 0xfffd
	v_cndmask_b32_e64 v16, 0, 1, vcc_lo
	v_sub_nc_u32_e32 v19, 0x3f1, v22
	v_lshl_or_b32 v20, v18, 12, v17
	v_cmp_gt_i32_e32 vcc_lo, 1, v18
	s_clause 0x1
	global_store_b32 v[5:6], v21, off
	global_store_b32 v[9:10], v15, off
	v_or_b32_e32 v16, v23, v16
	v_or_b32_e32 v23, 0x1000, v7
	v_med3_i32 v19, v19, 0, 13
	v_mad_co_u64_u32 v[5:6], null, 0xfffff6dc, s4, v[9:10]
	s_wait_alu 0xfffd
	v_cndmask_b32_e32 v16, v20, v16, vcc_lo
	v_lshrrev_b32_e32 v8, 16, v8
	v_lshrrev_b32_e32 v14, v19, v23
	s_delay_alu instid0(VALU_DEP_3) | instskip(SKIP_1) | instid1(VALU_DEP_3)
	v_and_b32_e32 v15, 7, v16
	v_lshrrev_b32_e32 v10, 2, v16
	v_lshlrev_b32_e32 v9, v19, v14
	v_lshrrev_b32_e32 v16, 16, v0
	s_wait_alu 0xfffe
	v_add_nc_u32_e32 v6, s3, v6
	v_cmp_lt_i32_e32 vcc_lo, 5, v15
	v_cmp_eq_u32_e64 s0, 3, v15
	v_cmp_ne_u32_e64 s1, v9, v23
	v_mul_f16_e32 v19, v42, v16
	global_store_b32 v[5:6], v3, off
	s_or_b32 vcc_lo, s0, vcc_lo
	v_cndmask_b32_e64 v9, 0, 1, s1
	s_wait_alu 0xfffe
	v_add_co_ci_u32_e32 v10, vcc_lo, 0, v10, vcc_lo
	v_mul_f64_e32 v[1:2], s[8:9], v[1:2]
	v_cmp_ne_u32_e32 vcc_lo, 0, v17
	v_or_b32_e32 v9, v14, v9
	v_add_nc_u32_e32 v15, 0xfffffc10, v22
	v_fmac_f16_e32 v19, v39, v0
	v_and_or_b32 v12, 0x1ff, v13, v12
	s_wait_alu 0xfffd
	v_cndmask_b32_e64 v17, 0, 1, vcc_lo
	v_bfe_u32 v20, v13, 20, 11
	v_lshl_or_b32 v14, v15, 12, v7
	v_cmp_gt_i32_e32 vcc_lo, 1, v15
	v_cvt_f32_f16_e32 v19, v19
	v_cmp_ne_u32_e64 s0, 0, v12
	v_mul_f16_e32 v0, v42, v0
	s_wait_alu 0xfffd
	v_cndmask_b32_e32 v14, v14, v9, vcc_lo
	v_cmp_gt_i32_e32 vcc_lo, 31, v18
	s_wait_alu 0xf1ff
	v_cndmask_b32_e64 v12, 0, 1, s0
	v_fma_f16 v0, v39, v16, -v0
	s_wait_alu 0xfffd
	v_cndmask_b32_e32 v9, 0x7c00, v10, vcc_lo
	v_lshl_or_b32 v10, v17, 9, 0x7c00
	v_cmp_eq_u32_e32 vcc_lo, 0x40f, v18
	v_and_b32_e32 v17, 7, v14
	v_lshrrev_b32_e32 v14, 2, v14
	v_cvt_f32_f16_e32 v23, v0
	s_wait_alu 0xfffd
	v_cndmask_b32_e32 v18, v9, v10, vcc_lo
	v_cvt_f64_f32_e32 v[9:10], v19
	v_lshrrev_b32_e32 v19, 8, v13
	v_cmp_lt_i32_e32 vcc_lo, 5, v17
	v_cmp_eq_u32_e64 s0, 3, v17
	v_sub_nc_u32_e32 v17, 0x3f1, v20
	v_and_or_b32 v11, 0x8000, v11, v18
	v_and_or_b32 v12, 0xffe, v19, v12
	v_lshrrev_b32_e32 v13, 16, v13
	s_or_b32 vcc_lo, s0, vcc_lo
	v_med3_i32 v17, v17, 0, 13
	s_wait_alu 0xfffe
	v_add_co_ci_u32_e32 v14, vcc_lo, 0, v14, vcc_lo
	v_or_b32_e32 v18, 0x1000, v12
	v_cmp_gt_i32_e32 vcc_lo, 31, v15
	v_and_or_b32 v1, 0x1ff, v2, v1
	v_lshrrev_b32_e32 v21, 8, v2
	v_bfe_u32 v22, v2, 20, 11
	v_lshrrev_b32_e32 v19, v17, v18
	s_wait_alu 0xfffd
	v_cndmask_b32_e32 v14, 0x7c00, v14, vcc_lo
	v_cmp_ne_u32_e32 vcc_lo, 0, v7
	s_delay_alu instid0(VALU_DEP_3) | instskip(SKIP_3) | instid1(VALU_DEP_2)
	v_lshlrev_b32_e32 v17, v17, v19
	s_wait_alu 0xfffd
	v_cndmask_b32_e64 v7, 0, 1, vcc_lo
	v_cmp_ne_u32_e32 vcc_lo, 0, v1
	v_lshl_or_b32 v7, v7, 9, 0x7c00
	s_wait_alu 0xfffd
	v_cndmask_b32_e64 v1, 0, 1, vcc_lo
	v_cmp_ne_u32_e32 vcc_lo, v17, v18
	v_add_nc_u32_e32 v17, 0xfffffc10, v20
	s_delay_alu instid0(VALU_DEP_3)
	v_and_or_b32 v21, 0xffe, v21, v1
	v_sub_nc_u32_e32 v1, 0x3f1, v22
	s_wait_alu 0xfffd
	v_cndmask_b32_e64 v16, 0, 1, vcc_lo
	v_cmp_eq_u32_e32 vcc_lo, 0x40f, v15
	v_or_b32_e32 v18, 0x1000, v21
	v_med3_i32 v20, v1, 0, 13
	v_mul_f64_e32 v[0:1], s[8:9], v[9:10]
	v_cvt_f64_f32_e32 v[9:10], v23
	v_or_b32_e32 v16, v19, v16
	v_lshl_or_b32 v19, v17, 12, v12
	v_lshrrev_b32_e32 v24, v20, v18
	s_wait_alu 0xfffd
	v_cndmask_b32_e32 v7, v14, v7, vcc_lo
	v_cmp_gt_i32_e32 vcc_lo, 1, v17
	s_delay_alu instid0(VALU_DEP_3) | instskip(NEXT) | instid1(VALU_DEP_3)
	v_lshlrev_b32_e32 v15, v20, v24
	v_and_or_b32 v7, 0x8000, v8, v7
	s_wait_alu 0xfffd
	v_cndmask_b32_e32 v14, v19, v16, vcc_lo
	v_and_b32_e32 v8, 0xffff, v11
	v_add_nc_u32_e32 v16, 0xfffffc10, v22
	v_cmp_ne_u32_e32 vcc_lo, v15, v18
	s_delay_alu instid0(VALU_DEP_4) | instskip(NEXT) | instid1(VALU_DEP_4)
	v_and_b32_e32 v11, 7, v14
	v_lshl_or_b32 v18, v7, 16, v8
	s_delay_alu instid0(VALU_DEP_4)
	v_lshl_or_b32 v7, v16, 12, v21
	s_wait_alu 0xfffd
	v_cndmask_b32_e64 v15, 0, 1, vcc_lo
	v_cmp_gt_i32_e64 s1, 1, v16
	v_cmp_lt_i32_e32 vcc_lo, 5, v11
	v_cmp_eq_u32_e64 s0, 3, v11
	v_lshrrev_b32_e32 v8, 2, v14
	v_or_b32_e32 v3, v24, v15
	v_lshrrev_b32_e32 v15, 16, v4
	s_delay_alu instid0(VALU_DEP_4) | instskip(NEXT) | instid1(VALU_DEP_2)
	s_or_b32 vcc_lo, s0, vcc_lo
	v_cndmask_b32_e64 v3, v7, v3, s1
	s_delay_alu instid0(VALU_DEP_2)
	v_mul_f16_e32 v7, v40, v15
	s_wait_alu 0xfffe
	v_add_co_ci_u32_e32 v8, vcc_lo, 0, v8, vcc_lo
	v_cmp_ne_u32_e32 vcc_lo, 0, v12
	v_and_b32_e32 v12, 7, v3
	v_fmac_f16_e32 v7, v37, v4
	v_lshrrev_b32_e32 v3, 2, v3
	v_and_or_b32 v0, 0x1ff, v1, v0
	s_wait_alu 0xfffd
	v_cndmask_b32_e64 v11, 0, 1, vcc_lo
	v_cmp_gt_i32_e32 vcc_lo, 31, v17
	v_cvt_f32_f16_e32 v19, v7
	v_cmp_eq_u32_e64 s0, 3, v12
	v_cmp_ne_u32_e64 s1, 0, v0
	v_lshl_or_b32 v11, v11, 9, 0x7c00
	s_wait_alu 0xfffd
	v_cndmask_b32_e32 v14, 0x7c00, v8, vcc_lo
	v_mul_f64_e32 v[7:8], s[8:9], v[9:10]
	v_cvt_f64_f32_e32 v[9:10], v19
	v_cmp_lt_i32_e32 vcc_lo, 5, v12
	s_wait_alu 0xf1ff
	v_cndmask_b32_e64 v0, 0, 1, s1
	v_lshrrev_b32_e32 v12, 8, v1
	v_bfe_u32 v19, v1, 20, 11
	v_cmp_eq_u32_e64 s1, 0x40f, v17
	s_or_b32 vcc_lo, s0, vcc_lo
	s_delay_alu instid0(VALU_DEP_3) | instskip(NEXT) | instid1(VALU_DEP_3)
	v_and_or_b32 v0, 0xffe, v12, v0
	v_sub_nc_u32_e32 v12, 0x3f1, v19
	s_wait_alu 0xfffe
	v_add_co_ci_u32_e32 v3, vcc_lo, 0, v3, vcc_lo
	v_cmp_ne_u32_e32 vcc_lo, 0, v21
	v_or_b32_e32 v17, 0x1000, v0
	v_med3_i32 v12, v12, 0, 13
	v_cndmask_b32_e64 v11, v14, v11, s1
	s_wait_alu 0xfffd
	v_cndmask_b32_e64 v14, 0, 1, vcc_lo
	v_cmp_gt_i32_e32 vcc_lo, 31, v16
	v_lshrrev_b32_e32 v20, v12, v17
	v_and_or_b32 v11, 0x8000, v13, v11
	s_delay_alu instid0(VALU_DEP_4)
	v_lshl_or_b32 v14, v14, 9, 0x7c00
	s_wait_alu 0xfffd
	v_cndmask_b32_e32 v3, 0x7c00, v3, vcc_lo
	v_add_co_u32 v5, vcc_lo, v5, s6
	s_wait_alu 0xfffd
	v_add_co_ci_u32_e32 v6, vcc_lo, s7, v6, vcc_lo
	v_lshlrev_b32_e32 v12, v12, v20
	v_cmp_eq_u32_e32 vcc_lo, 0x40f, v16
	v_and_b32_e32 v11, 0xffff, v11
	s_wait_alu 0xfffd
	v_cndmask_b32_e32 v13, v3, v14, vcc_lo
	v_cmp_ne_u32_e32 vcc_lo, v12, v17
	v_mul_f16_e32 v3, v40, v4
	v_lshrrev_b32_e32 v4, 16, v2
	v_and_or_b32 v7, 0x1ff, v8, v7
	v_add_nc_u32_e32 v17, 0xfffffc10, v19
	s_wait_alu 0xfffd
	v_cndmask_b32_e64 v2, 0, 1, vcc_lo
	v_fma_f16 v12, v37, v15, -v3
	ds_load_b32 v14, v35 offset:3744
	v_cmp_ne_u32_e32 vcc_lo, 0, v7
	v_bfe_u32 v19, v8, 20, 11
	v_or_b32_e32 v15, v20, v2
	v_mul_f64_e32 v[2:3], s[8:9], v[9:10]
	v_cvt_f32_f16_e32 v9, v12
	s_wait_alu 0xfffd
	v_cndmask_b32_e64 v7, 0, 1, vcc_lo
	v_lshrrev_b32_e32 v12, 8, v8
	v_lshl_or_b32 v16, v17, 12, v0
	v_cmp_gt_i32_e32 vcc_lo, 1, v17
	v_cvt_f64_f32_e32 v[9:10], v9
	v_and_or_b32 v4, 0x8000, v4, v13
	v_and_or_b32 v7, 0xffe, v12, v7
	v_sub_nc_u32_e32 v12, 0x3f1, v19
	s_wait_alu 0xfffd
	v_cndmask_b32_e32 v15, v16, v15, vcc_lo
	v_add_nc_u32_e32 v19, 0xfffffc10, v19
	v_lshl_or_b32 v4, v4, 16, v11
	v_or_b32_e32 v16, 0x1000, v7
	v_med3_i32 v20, v12, 0, 13
	v_and_b32_e32 v13, 7, v15
	s_wait_dscnt 0x0
	v_lshrrev_b32_e32 v21, 16, v14
	v_lshrrev_b32_e32 v15, 2, v15
	v_add_co_u32 v11, s1, v5, s6
	v_lshrrev_b32_e32 v22, v20, v16
	v_cmp_lt_i32_e32 vcc_lo, 5, v13
	v_cmp_eq_u32_e64 s0, 3, v13
	v_mul_f16_e32 v13, v38, v21
	s_wait_alu 0xf1ff
	v_add_co_ci_u32_e64 v12, s1, s7, v6, s1
	v_lshlrev_b32_e32 v20, v20, v22
	s_or_b32 vcc_lo, s0, vcc_lo
	v_fmac_f16_e32 v13, v36, v14
	s_wait_alu 0xfffe
	v_add_co_ci_u32_e32 v23, vcc_lo, 0, v15, vcc_lo
	v_cmp_ne_u32_e32 vcc_lo, v20, v16
	v_mul_f16_e32 v14, v38, v14
	v_cvt_f32_f16_e32 v13, v13
	v_cmp_eq_u32_e64 s1, 0x40f, v17
	v_lshrrev_b32_e32 v8, 16, v8
	s_wait_alu 0xfffd
	v_cndmask_b32_e64 v15, 0, 1, vcc_lo
	v_fma_f16 v16, v36, v21, -v14
	v_and_or_b32 v2, 0x1ff, v3, v2
	v_lshl_or_b32 v21, v19, 12, v7
	v_cvt_f64_f32_e32 v[13:14], v13
	v_or_b32_e32 v20, v22, v15
	v_cvt_f32_f16_e32 v15, v16
	v_cmp_ne_u32_e32 vcc_lo, 0, v2
	v_lshrrev_b32_e32 v22, 8, v3
	v_bfe_u32 v24, v3, 20, 11
	v_mul_f64_e32 v[9:10], s[8:9], v[9:10]
	v_cvt_f64_f32_e32 v[15:16], v15
	s_wait_alu 0xfffd
	v_cndmask_b32_e64 v2, 0, 1, vcc_lo
	v_cmp_gt_i32_e32 vcc_lo, 1, v19
	v_lshrrev_b32_e32 v3, 16, v3
	s_delay_alu instid0(VALU_DEP_3)
	v_and_or_b32 v2, 0xffe, v22, v2
	s_wait_alu 0xfffd
	v_cndmask_b32_e32 v20, v21, v20, vcc_lo
	v_cmp_ne_u32_e32 vcc_lo, 0, v0
	v_sub_nc_u32_e32 v21, 0x3f1, v24
	v_add_nc_u32_e32 v24, 0xfffffc10, v24
	v_or_b32_e32 v25, 0x1000, v2
	v_and_b32_e32 v22, 7, v20
	s_wait_alu 0xfffd
	v_cndmask_b32_e64 v0, 0, 1, vcc_lo
	v_cmp_gt_i32_e32 vcc_lo, 31, v17
	v_med3_i32 v21, v21, 0, 13
	v_cmp_eq_u32_e64 s0, 3, v22
	s_delay_alu instid0(VALU_DEP_4)
	v_lshl_or_b32 v0, v0, 9, 0x7c00
	s_wait_alu 0xfffd
	v_cndmask_b32_e32 v23, 0x7c00, v23, vcc_lo
	v_cmp_lt_i32_e32 vcc_lo, 5, v22
	v_lshrrev_b32_e32 v22, v21, v25
	s_wait_alu 0xf1ff
	s_delay_alu instid0(VALU_DEP_3)
	v_cndmask_b32_e64 v17, v23, v0, s1
	v_lshrrev_b32_e32 v0, 2, v20
	s_or_b32 vcc_lo, s0, vcc_lo
	v_lshrrev_b32_e32 v20, 16, v1
	v_lshlrev_b32_e32 v1, v21, v22
	s_wait_alu 0xfffe
	v_add_co_ci_u32_e32 v21, vcc_lo, 0, v0, vcc_lo
	v_cmp_ne_u32_e32 vcc_lo, 0, v7
	v_and_or_b32 v17, 0x8000, v20, v17
	s_wait_alu 0xfffd
	v_cndmask_b32_e64 v7, 0, 1, vcc_lo
	v_cmp_ne_u32_e32 vcc_lo, v1, v25
	v_mul_f64_e32 v[0:1], s[8:9], v[13:14]
	v_and_or_b32 v9, 0x1ff, v10, v9
	v_and_b32_e32 v17, 0xffff, v17
	v_lshl_or_b32 v7, v7, 9, 0x7c00
	s_wait_alu 0xfffd
	v_cndmask_b32_e64 v23, 0, 1, vcc_lo
	v_cmp_gt_i32_e32 vcc_lo, 31, v19
	s_wait_alu 0xfffd
	v_cndmask_b32_e32 v13, 0x7c00, v21, vcc_lo
	v_cmp_eq_u32_e32 vcc_lo, 0x40f, v19
	v_or_b32_e32 v21, v22, v23
	v_lshl_or_b32 v22, v24, 12, v2
	v_bfe_u32 v19, v10, 20, 11
	s_wait_alu 0xfffd
	v_cndmask_b32_e32 v7, v13, v7, vcc_lo
	v_cmp_gt_i32_e32 vcc_lo, 1, v24
	v_mul_f64_e32 v[13:14], s[8:9], v[15:16]
	v_lshrrev_b32_e32 v16, 8, v10
	v_lshrrev_b32_e32 v10, 16, v10
	s_wait_alu 0xfffd
	v_cndmask_b32_e32 v15, v22, v21, vcc_lo
	v_cmp_ne_u32_e32 vcc_lo, 0, v9
	v_and_or_b32 v21, 0x8000, v8, v7
	v_mad_co_u64_u32 v[7:8], null, 0xfffff6dc, s4, v[11:12]
	s_delay_alu instid0(VALU_DEP_4) | instskip(SKIP_3) | instid1(VALU_DEP_3)
	v_and_b32_e32 v20, 7, v15
	s_wait_alu 0xfffd
	v_cndmask_b32_e64 v9, 0, 1, vcc_lo
	v_lshrrev_b32_e32 v15, 2, v15
	v_cmp_lt_i32_e32 vcc_lo, 5, v20
	s_delay_alu instid0(VALU_DEP_3)
	v_and_or_b32 v9, 0xffe, v16, v9
	v_sub_nc_u32_e32 v16, 0x3f1, v19
	v_cmp_eq_u32_e64 s0, 3, v20
	v_add_nc_u32_e32 v19, 0xfffffc10, v19
	v_add_nc_u32_e32 v8, s3, v8
	v_or_b32_e32 v22, 0x1000, v9
	v_med3_i32 v16, v16, 0, 13
	s_or_b32 vcc_lo, s0, vcc_lo
	v_and_or_b32 v0, 0x1ff, v1, v0
	s_wait_alu 0xfffe
	v_add_co_ci_u32_e32 v15, vcc_lo, 0, v15, vcc_lo
	v_lshrrev_b32_e32 v20, v16, v22
	v_cmp_ne_u32_e32 vcc_lo, 0, v2
	v_bfe_u32 v23, v1, 20, 11
	s_delay_alu instid0(VALU_DEP_3) | instskip(SKIP_3) | instid1(VALU_DEP_2)
	v_lshlrev_b32_e32 v16, v16, v20
	s_wait_alu 0xfffd
	v_cndmask_b32_e64 v2, 0, 1, vcc_lo
	v_cmp_gt_i32_e32 vcc_lo, 31, v24
	v_lshl_or_b32 v2, v2, 9, 0x7c00
	s_wait_alu 0xfffd
	v_cndmask_b32_e32 v15, 0x7c00, v15, vcc_lo
	v_cmp_ne_u32_e32 vcc_lo, v16, v22
	v_and_or_b32 v13, 0x1ff, v14, v13
	v_lshrrev_b32_e32 v22, 8, v1
	v_lshrrev_b32_e32 v25, 8, v14
	v_bfe_u32 v26, v14, 20, 11
	s_wait_alu 0xfffd
	v_cndmask_b32_e64 v16, 0, 1, vcc_lo
	v_cmp_ne_u32_e32 vcc_lo, 0, v0
	v_lshrrev_b32_e32 v1, 16, v1
	s_delay_alu instid0(VALU_DEP_3) | instskip(SKIP_4) | instid1(VALU_DEP_3)
	v_or_b32_e32 v16, v20, v16
	s_wait_alu 0xfffd
	v_cndmask_b32_e64 v0, 0, 1, vcc_lo
	v_cmp_ne_u32_e32 vcc_lo, 0, v13
	v_lshl_or_b32 v20, v19, 12, v9
	v_and_or_b32 v0, 0xffe, v22, v0
	v_sub_nc_u32_e32 v22, 0x3f1, v23
	s_wait_alu 0xfffd
	v_cndmask_b32_e64 v13, 0, 1, vcc_lo
	v_cmp_gt_i32_e32 vcc_lo, 1, v19
	s_delay_alu instid0(VALU_DEP_3) | instskip(NEXT) | instid1(VALU_DEP_3)
	v_med3_i32 v22, v22, 0, 13
	v_and_or_b32 v13, 0xffe, v25, v13
	s_wait_alu 0xfffd
	v_cndmask_b32_e32 v16, v20, v16, vcc_lo
	v_or_b32_e32 v20, 0x1000, v0
	v_sub_nc_u32_e32 v25, 0x3f1, v26
	v_cmp_eq_u32_e32 vcc_lo, 0x40f, v24
	v_or_b32_e32 v27, 0x1000, v13
	v_and_b32_e32 v24, 7, v16
	v_lshrrev_b32_e32 v16, 2, v16
	v_med3_i32 v25, v25, 0, 13
	s_wait_alu 0xfffd
	v_cndmask_b32_e32 v2, v15, v2, vcc_lo
	v_lshrrev_b32_e32 v15, v22, v20
	v_cmp_lt_i32_e32 vcc_lo, 5, v24
	v_cmp_eq_u32_e64 s0, 3, v24
	v_lshrrev_b32_e32 v24, v25, v27
	v_and_or_b32 v2, 0x8000, v3, v2
	v_lshlrev_b32_e32 v22, v22, v15
	s_delay_alu instid0(VALU_DEP_4) | instskip(SKIP_2) | instid1(VALU_DEP_2)
	s_or_b32 vcc_lo, s0, vcc_lo
	s_wait_alu 0xfffe
	v_add_co_ci_u32_e32 v16, vcc_lo, 0, v16, vcc_lo
	v_cmp_ne_u32_e64 s1, v22, v20
	v_add_nc_u32_e32 v22, 0xfffffc10, v23
	v_lshlrev_b32_e32 v23, v25, v24
	v_add_nc_u32_e32 v25, 0xfffffc10, v26
	v_and_b32_e32 v2, 0xffff, v2
	s_wait_alu 0xf1ff
	v_cndmask_b32_e64 v20, 0, 1, s1
	v_cmp_ne_u32_e32 vcc_lo, v23, v27
	s_delay_alu instid0(VALU_DEP_2)
	v_or_b32_e32 v15, v15, v20
	v_lshl_or_b32 v20, v22, 12, v0
	s_wait_alu 0xfffd
	v_cndmask_b32_e64 v23, 0, 1, vcc_lo
	v_cmp_ne_u32_e32 vcc_lo, 0, v9
	s_wait_alu 0xfffd
	v_cndmask_b32_e64 v9, 0, 1, vcc_lo
	v_cmp_gt_i32_e32 vcc_lo, 1, v22
	s_delay_alu instid0(VALU_DEP_2)
	v_lshl_or_b32 v9, v9, 9, 0x7c00
	s_wait_alu 0xfffd
	v_cndmask_b32_e32 v15, v20, v15, vcc_lo
	v_cmp_gt_i32_e32 vcc_lo, 31, v19
	v_or_b32_e32 v20, v24, v23
	v_lshl_or_b32 v23, v25, 12, v13
	s_delay_alu instid0(VALU_DEP_4) | instskip(SKIP_3) | instid1(VALU_DEP_3)
	v_and_b32_e32 v24, 7, v15
	s_wait_alu 0xfffd
	v_cndmask_b32_e32 v16, 0x7c00, v16, vcc_lo
	v_cmp_gt_i32_e32 vcc_lo, 1, v25
	v_cmp_eq_u32_e64 s0, 3, v24
	s_wait_alu 0xfffd
	v_cndmask_b32_e32 v20, v23, v20, vcc_lo
	v_cmp_eq_u32_e32 vcc_lo, 0x40f, v19
	s_delay_alu instid0(VALU_DEP_2) | instskip(SKIP_3) | instid1(VALU_DEP_3)
	v_and_b32_e32 v3, 7, v20
	s_wait_alu 0xfffd
	v_cndmask_b32_e32 v9, v16, v9, vcc_lo
	v_cmp_lt_i32_e32 vcc_lo, 5, v24
	v_cmp_lt_i32_e64 s1, 5, v3
	s_delay_alu instid0(VALU_DEP_3) | instskip(SKIP_3) | instid1(VALU_DEP_3)
	v_and_or_b32 v9, 0x8000, v10, v9
	v_lshrrev_b32_e32 v10, 2, v15
	s_or_b32 vcc_lo, s0, vcc_lo
	v_cmp_eq_u32_e64 s2, 3, v3
	v_lshl_or_b32 v9, v9, 16, v2
	s_wait_alu 0xfffe
	v_add_co_ci_u32_e32 v3, vcc_lo, 0, v10, vcc_lo
	v_cmp_ne_u32_e32 vcc_lo, 0, v0
	v_lshrrev_b32_e32 v10, 2, v20
	s_wait_alu 0xfffd
	v_cndmask_b32_e64 v0, 0, 1, vcc_lo
	s_or_b32 vcc_lo, s2, s1
	s_wait_alu 0xfffe
	v_add_co_ci_u32_e32 v10, vcc_lo, 0, v10, vcc_lo
	v_cmp_ne_u32_e32 vcc_lo, 0, v13
	v_lshl_or_b32 v0, v0, 9, 0x7c00
	s_wait_alu 0xfffd
	v_cndmask_b32_e64 v13, 0, 1, vcc_lo
	v_cmp_gt_i32_e32 vcc_lo, 31, v22
	s_delay_alu instid0(VALU_DEP_2)
	v_lshl_or_b32 v13, v13, 9, 0x7c00
	s_wait_alu 0xfffd
	v_cndmask_b32_e32 v3, 0x7c00, v3, vcc_lo
	v_cmp_gt_i32_e32 vcc_lo, 31, v25
	s_wait_alu 0xfffd
	v_cndmask_b32_e32 v10, 0x7c00, v10, vcc_lo
	v_cmp_eq_u32_e32 vcc_lo, 0x40f, v22
	s_wait_alu 0xfffd
	v_cndmask_b32_e32 v0, v3, v0, vcc_lo
	v_cmp_eq_u32_e32 vcc_lo, 0x40f, v25
	s_delay_alu instid0(VALU_DEP_2) | instskip(SKIP_4) | instid1(VALU_DEP_2)
	v_and_or_b32 v0, 0x8000, v1, v0
	s_wait_alu 0xfffd
	v_cndmask_b32_e32 v3, v10, v13, vcc_lo
	v_lshrrev_b32_e32 v10, 16, v14
	v_lshl_or_b32 v13, v21, 16, v17
	v_and_or_b32 v2, 0x8000, v10, v3
	v_and_b32_e32 v3, 0xffff, v0
	v_add_co_u32 v0, vcc_lo, v7, s6
	s_wait_alu 0xfffd
	v_add_co_ci_u32_e32 v1, vcc_lo, s7, v8, vcc_lo
	s_delay_alu instid0(VALU_DEP_3) | instskip(NEXT) | instid1(VALU_DEP_3)
	v_lshl_or_b32 v10, v2, 16, v3
	v_add_co_u32 v2, vcc_lo, v0, s6
	s_wait_alu 0xfffd
	s_delay_alu instid0(VALU_DEP_3)
	v_add_co_ci_u32_e32 v3, vcc_lo, s7, v1, vcc_lo
	global_store_b32 v[5:6], v18, off
	global_store_b32 v[11:12], v4, off
	;; [unrolled: 1-line block ×5, first 2 shown]
.LBB0_10:
	s_nop 0
	s_sendmsg sendmsg(MSG_DEALLOC_VGPRS)
	s_endpgm
	.section	.rodata,"a",@progbits
	.p2align	6, 0x0
	.amdhsa_kernel bluestein_single_back_len1053_dim1_half_op_CI_CI
		.amdhsa_group_segment_fixed_size 4212
		.amdhsa_private_segment_fixed_size 0
		.amdhsa_kernarg_size 104
		.amdhsa_user_sgpr_count 2
		.amdhsa_user_sgpr_dispatch_ptr 0
		.amdhsa_user_sgpr_queue_ptr 0
		.amdhsa_user_sgpr_kernarg_segment_ptr 1
		.amdhsa_user_sgpr_dispatch_id 0
		.amdhsa_user_sgpr_private_segment_size 0
		.amdhsa_wavefront_size32 1
		.amdhsa_uses_dynamic_stack 0
		.amdhsa_enable_private_segment 0
		.amdhsa_system_sgpr_workgroup_id_x 1
		.amdhsa_system_sgpr_workgroup_id_y 0
		.amdhsa_system_sgpr_workgroup_id_z 0
		.amdhsa_system_sgpr_workgroup_info 0
		.amdhsa_system_vgpr_workitem_id 0
		.amdhsa_next_free_vgpr 242
		.amdhsa_next_free_sgpr 20
		.amdhsa_reserve_vcc 1
		.amdhsa_float_round_mode_32 0
		.amdhsa_float_round_mode_16_64 0
		.amdhsa_float_denorm_mode_32 3
		.amdhsa_float_denorm_mode_16_64 3
		.amdhsa_fp16_overflow 0
		.amdhsa_workgroup_processor_mode 1
		.amdhsa_memory_ordered 1
		.amdhsa_forward_progress 0
		.amdhsa_round_robin_scheduling 0
		.amdhsa_exception_fp_ieee_invalid_op 0
		.amdhsa_exception_fp_denorm_src 0
		.amdhsa_exception_fp_ieee_div_zero 0
		.amdhsa_exception_fp_ieee_overflow 0
		.amdhsa_exception_fp_ieee_underflow 0
		.amdhsa_exception_fp_ieee_inexact 0
		.amdhsa_exception_int_div_zero 0
	.end_amdhsa_kernel
	.text
.Lfunc_end0:
	.size	bluestein_single_back_len1053_dim1_half_op_CI_CI, .Lfunc_end0-bluestein_single_back_len1053_dim1_half_op_CI_CI
                                        ; -- End function
	.section	.AMDGPU.csdata,"",@progbits
; Kernel info:
; codeLenInByte = 21508
; NumSgprs: 22
; NumVgprs: 242
; ScratchSize: 0
; MemoryBound: 0
; FloatMode: 240
; IeeeMode: 1
; LDSByteSize: 4212 bytes/workgroup (compile time only)
; SGPRBlocks: 2
; VGPRBlocks: 30
; NumSGPRsForWavesPerEU: 22
; NumVGPRsForWavesPerEU: 242
; Occupancy: 5
; WaveLimiterHint : 1
; COMPUTE_PGM_RSRC2:SCRATCH_EN: 0
; COMPUTE_PGM_RSRC2:USER_SGPR: 2
; COMPUTE_PGM_RSRC2:TRAP_HANDLER: 0
; COMPUTE_PGM_RSRC2:TGID_X_EN: 1
; COMPUTE_PGM_RSRC2:TGID_Y_EN: 0
; COMPUTE_PGM_RSRC2:TGID_Z_EN: 0
; COMPUTE_PGM_RSRC2:TIDIG_COMP_CNT: 0
	.text
	.p2alignl 7, 3214868480
	.fill 96, 4, 3214868480
	.type	__hip_cuid_252fb34f42a41993,@object ; @__hip_cuid_252fb34f42a41993
	.section	.bss,"aw",@nobits
	.globl	__hip_cuid_252fb34f42a41993
__hip_cuid_252fb34f42a41993:
	.byte	0                               ; 0x0
	.size	__hip_cuid_252fb34f42a41993, 1

	.ident	"AMD clang version 19.0.0git (https://github.com/RadeonOpenCompute/llvm-project roc-6.4.0 25133 c7fe45cf4b819c5991fe208aaa96edf142730f1d)"
	.section	".note.GNU-stack","",@progbits
	.addrsig
	.addrsig_sym __hip_cuid_252fb34f42a41993
	.amdgpu_metadata
---
amdhsa.kernels:
  - .args:
      - .actual_access:  read_only
        .address_space:  global
        .offset:         0
        .size:           8
        .value_kind:     global_buffer
      - .actual_access:  read_only
        .address_space:  global
        .offset:         8
        .size:           8
        .value_kind:     global_buffer
      - .actual_access:  read_only
        .address_space:  global
        .offset:         16
        .size:           8
        .value_kind:     global_buffer
      - .actual_access:  read_only
        .address_space:  global
        .offset:         24
        .size:           8
        .value_kind:     global_buffer
      - .actual_access:  read_only
        .address_space:  global
        .offset:         32
        .size:           8
        .value_kind:     global_buffer
      - .offset:         40
        .size:           8
        .value_kind:     by_value
      - .address_space:  global
        .offset:         48
        .size:           8
        .value_kind:     global_buffer
      - .address_space:  global
        .offset:         56
        .size:           8
        .value_kind:     global_buffer
      - .address_space:  global
        .offset:         64
        .size:           8
        .value_kind:     global_buffer
      - .address_space:  global
        .offset:         72
        .size:           8
        .value_kind:     global_buffer
      - .offset:         80
        .size:           4
        .value_kind:     by_value
      - .address_space:  global
        .offset:         88
        .size:           8
        .value_kind:     global_buffer
      - .address_space:  global
        .offset:         96
        .size:           8
        .value_kind:     global_buffer
    .group_segment_fixed_size: 4212
    .kernarg_segment_align: 8
    .kernarg_segment_size: 104
    .language:       OpenCL C
    .language_version:
      - 2
      - 0
    .max_flat_workgroup_size: 117
    .name:           bluestein_single_back_len1053_dim1_half_op_CI_CI
    .private_segment_fixed_size: 0
    .sgpr_count:     22
    .sgpr_spill_count: 0
    .symbol:         bluestein_single_back_len1053_dim1_half_op_CI_CI.kd
    .uniform_work_group_size: 1
    .uses_dynamic_stack: false
    .vgpr_count:     242
    .vgpr_spill_count: 0
    .wavefront_size: 32
    .workgroup_processor_mode: 1
amdhsa.target:   amdgcn-amd-amdhsa--gfx1201
amdhsa.version:
  - 1
  - 2
...

	.end_amdgpu_metadata
